;; amdgpu-corpus repo=ROCm/rocFFT kind=compiled arch=gfx950 opt=O3
	.text
	.amdgcn_target "amdgcn-amd-amdhsa--gfx950"
	.amdhsa_code_object_version 6
	.protected	fft_rtc_back_len1122_factors_17_11_6_wgs_204_tpt_102_halfLds_sp_op_CI_CI_unitstride_sbrr_R2C_dirReg ; -- Begin function fft_rtc_back_len1122_factors_17_11_6_wgs_204_tpt_102_halfLds_sp_op_CI_CI_unitstride_sbrr_R2C_dirReg
	.globl	fft_rtc_back_len1122_factors_17_11_6_wgs_204_tpt_102_halfLds_sp_op_CI_CI_unitstride_sbrr_R2C_dirReg
	.p2align	8
	.type	fft_rtc_back_len1122_factors_17_11_6_wgs_204_tpt_102_halfLds_sp_op_CI_CI_unitstride_sbrr_R2C_dirReg,@function
fft_rtc_back_len1122_factors_17_11_6_wgs_204_tpt_102_halfLds_sp_op_CI_CI_unitstride_sbrr_R2C_dirReg: ; @fft_rtc_back_len1122_factors_17_11_6_wgs_204_tpt_102_halfLds_sp_op_CI_CI_unitstride_sbrr_R2C_dirReg
; %bb.0:
	s_load_dwordx4 s[4:7], s[0:1], 0x58
	s_load_dwordx4 s[8:11], s[0:1], 0x0
	;; [unrolled: 1-line block ×3, first 2 shown]
	v_mul_u32_u24_e32 v1, 0x283, v0
	v_lshrrev_b32_e32 v1, 16, v1
	v_lshl_add_u32 v6, s2, 1, v1
	v_mov_b32_e32 v4, 0
	s_waitcnt lgkmcnt(0)
	v_cmp_lt_u64_e64 s[2:3], s[10:11], 2
	v_mov_b32_e32 v7, v4
	s_and_b64 vcc, exec, s[2:3]
	v_mov_b64_e32 v[2:3], 0
	s_cbranch_vccnz .LBB0_8
; %bb.1:
	s_load_dwordx2 s[2:3], s[0:1], 0x10
	s_add_u32 s16, s14, 8
	s_addc_u32 s17, s15, 0
	s_add_u32 s18, s12, 8
	s_addc_u32 s19, s13, 0
	s_waitcnt lgkmcnt(0)
	s_add_u32 s20, s2, 8
	v_mov_b64_e32 v[2:3], 0
	s_addc_u32 s21, s3, 0
	s_mov_b64 s[22:23], 1
	v_mov_b64_e32 v[36:37], v[2:3]
.LBB0_2:                                ; =>This Inner Loop Header: Depth=1
	s_load_dwordx2 s[24:25], s[20:21], 0x0
                                        ; implicit-def: $vgpr38_vgpr39
	s_waitcnt lgkmcnt(0)
	v_or_b32_e32 v5, s25, v7
	v_cmp_ne_u64_e32 vcc, 0, v[4:5]
	s_and_saveexec_b64 s[2:3], vcc
	s_xor_b64 s[26:27], exec, s[2:3]
	s_cbranch_execz .LBB0_4
; %bb.3:                                ;   in Loop: Header=BB0_2 Depth=1
	v_cvt_f32_u32_e32 v5, s24
	v_cvt_f32_u32_e32 v8, s25
	s_sub_u32 s2, 0, s24
	s_subb_u32 s3, 0, s25
	v_fmac_f32_e32 v5, 0x4f800000, v8
	v_rcp_f32_e32 v5, v5
	s_nop 0
	v_mul_f32_e32 v5, 0x5f7ffffc, v5
	v_mul_f32_e32 v8, 0x2f800000, v5
	v_trunc_f32_e32 v8, v8
	v_fmac_f32_e32 v5, 0xcf800000, v8
	v_cvt_u32_f32_e32 v12, v8
	v_cvt_u32_f32_e32 v5, v5
	v_mul_lo_u32 v8, s2, v12
	v_mul_hi_u32 v10, s2, v5
	v_mul_lo_u32 v9, s3, v5
	v_add_u32_e32 v10, v10, v8
	v_mul_lo_u32 v13, s2, v5
	v_add_u32_e32 v14, v10, v9
	v_mul_hi_u32 v8, v5, v13
	v_mul_hi_u32 v11, v5, v14
	v_mul_lo_u32 v10, v5, v14
	v_mov_b32_e32 v9, v4
	v_lshl_add_u64 v[8:9], v[8:9], 0, v[10:11]
	v_mul_hi_u32 v11, v12, v13
	v_mul_lo_u32 v13, v12, v13
	v_add_co_u32_e32 v8, vcc, v8, v13
	v_mul_hi_u32 v10, v12, v14
	s_nop 0
	v_addc_co_u32_e32 v8, vcc, v9, v11, vcc
	v_mov_b32_e32 v9, v4
	s_nop 0
	v_addc_co_u32_e32 v11, vcc, 0, v10, vcc
	v_mul_lo_u32 v10, v12, v14
	v_lshl_add_u64 v[8:9], v[8:9], 0, v[10:11]
	v_add_co_u32_e32 v5, vcc, v5, v8
	v_mul_lo_u32 v10, s2, v5
	s_nop 0
	v_addc_co_u32_e32 v12, vcc, v12, v9, vcc
	v_mul_lo_u32 v8, s2, v12
	v_mul_hi_u32 v9, s2, v5
	v_add_u32_e32 v8, v9, v8
	v_mul_lo_u32 v9, s3, v5
	v_add_u32_e32 v13, v8, v9
	v_mul_hi_u32 v15, v12, v10
	v_mul_lo_u32 v16, v12, v10
	v_mul_hi_u32 v9, v5, v13
	v_mul_lo_u32 v8, v5, v13
	v_mul_hi_u32 v10, v5, v10
	v_mov_b32_e32 v11, v4
	v_lshl_add_u64 v[8:9], v[10:11], 0, v[8:9]
	v_add_co_u32_e32 v8, vcc, v8, v16
	v_mul_hi_u32 v14, v12, v13
	s_nop 0
	v_addc_co_u32_e32 v8, vcc, v9, v15, vcc
	v_mul_lo_u32 v10, v12, v13
	s_nop 0
	v_addc_co_u32_e32 v11, vcc, 0, v14, vcc
	v_mov_b32_e32 v9, v4
	v_lshl_add_u64 v[8:9], v[8:9], 0, v[10:11]
	v_add_co_u32_e32 v5, vcc, v5, v8
	v_mul_hi_u32 v10, v6, v5
	s_nop 0
	v_addc_co_u32_e32 v12, vcc, v12, v9, vcc
	v_mad_u64_u32 v[8:9], s[2:3], v6, v12, 0
	v_mov_b32_e32 v11, v4
	v_lshl_add_u64 v[8:9], v[10:11], 0, v[8:9]
	v_mad_u64_u32 v[10:11], s[2:3], v7, v12, 0
	v_mad_u64_u32 v[12:13], s[2:3], v7, v5, 0
	v_add_co_u32_e32 v5, vcc, v8, v12
	s_nop 1
	v_addc_co_u32_e32 v8, vcc, v9, v13, vcc
	v_mov_b32_e32 v9, v4
	s_nop 0
	v_addc_co_u32_e32 v11, vcc, 0, v11, vcc
	v_lshl_add_u64 v[8:9], v[8:9], 0, v[10:11]
	v_mul_lo_u32 v5, s25, v8
	v_mul_lo_u32 v12, s24, v9
	v_mad_u64_u32 v[10:11], s[2:3], s24, v8, 0
	v_add3_u32 v5, v11, v12, v5
	v_sub_u32_e32 v11, v7, v5
	v_mov_b32_e32 v12, s25
	v_sub_co_u32_e32 v14, vcc, v6, v10
	s_nop 1
	v_subb_co_u32_e64 v10, s[2:3], v11, v12, vcc
	v_subrev_co_u32_e64 v11, s[2:3], s24, v14
	v_subb_co_u32_e32 v5, vcc, v7, v5, vcc
	s_nop 0
	v_subbrev_co_u32_e64 v10, s[2:3], 0, v10, s[2:3]
	v_cmp_le_u32_e64 s[2:3], s25, v10
	v_cmp_le_u32_e32 vcc, s25, v5
	s_nop 0
	v_cndmask_b32_e64 v12, 0, -1, s[2:3]
	v_cmp_le_u32_e64 s[2:3], s24, v11
	s_nop 1
	v_cndmask_b32_e64 v11, 0, -1, s[2:3]
	v_cmp_eq_u32_e64 s[2:3], s25, v10
	s_nop 1
	v_cndmask_b32_e64 v15, v12, v11, s[2:3]
	v_lshl_add_u64 v[10:11], v[8:9], 0, 2
	v_lshl_add_u64 v[12:13], v[8:9], 0, 1
	v_cmp_ne_u32_e64 s[2:3], 0, v15
	s_nop 1
	v_cndmask_b32_e64 v11, v13, v11, s[2:3]
	v_cndmask_b32_e64 v13, 0, -1, vcc
	v_cmp_le_u32_e32 vcc, s24, v14
	s_nop 1
	v_cndmask_b32_e64 v14, 0, -1, vcc
	v_cmp_eq_u32_e32 vcc, s25, v5
	s_nop 1
	v_cndmask_b32_e32 v5, v13, v14, vcc
	v_cmp_ne_u32_e32 vcc, 0, v5
	v_cndmask_b32_e64 v5, v12, v10, s[2:3]
	s_nop 0
	v_cndmask_b32_e32 v39, v9, v11, vcc
	v_cndmask_b32_e32 v38, v8, v5, vcc
.LBB0_4:                                ;   in Loop: Header=BB0_2 Depth=1
	s_andn2_saveexec_b64 s[2:3], s[26:27]
	s_cbranch_execz .LBB0_6
; %bb.5:                                ;   in Loop: Header=BB0_2 Depth=1
	v_cvt_f32_u32_e32 v5, s24
	s_sub_i32 s26, 0, s24
	v_mov_b32_e32 v39, v4
	v_rcp_iflag_f32_e32 v5, v5
	s_nop 0
	v_mul_f32_e32 v5, 0x4f7ffffe, v5
	v_cvt_u32_f32_e32 v5, v5
	v_mul_lo_u32 v8, s26, v5
	v_mul_hi_u32 v8, v5, v8
	v_add_u32_e32 v5, v5, v8
	v_mul_hi_u32 v5, v6, v5
	v_mul_lo_u32 v8, v5, s24
	v_sub_u32_e32 v8, v6, v8
	v_add_u32_e32 v9, 1, v5
	v_subrev_u32_e32 v10, s24, v8
	v_cmp_le_u32_e32 vcc, s24, v8
	s_nop 1
	v_cndmask_b32_e32 v8, v8, v10, vcc
	v_cndmask_b32_e32 v5, v5, v9, vcc
	v_add_u32_e32 v9, 1, v5
	v_cmp_le_u32_e32 vcc, s24, v8
	s_nop 1
	v_cndmask_b32_e32 v38, v5, v9, vcc
.LBB0_6:                                ;   in Loop: Header=BB0_2 Depth=1
	s_or_b64 exec, exec, s[2:3]
	v_mad_u64_u32 v[8:9], s[2:3], v38, s24, 0
	s_load_dwordx2 s[2:3], s[18:19], 0x0
	v_mul_lo_u32 v5, v39, s24
	v_mul_lo_u32 v10, v38, s25
	s_load_dwordx2 s[24:25], s[16:17], 0x0
	s_add_u32 s22, s22, 1
	v_add3_u32 v5, v9, v10, v5
	v_sub_co_u32_e32 v6, vcc, v6, v8
	s_addc_u32 s23, s23, 0
	s_nop 0
	v_subb_co_u32_e32 v5, vcc, v7, v5, vcc
	s_add_u32 s16, s16, 8
	s_waitcnt lgkmcnt(0)
	v_mul_lo_u32 v7, s2, v5
	v_mul_lo_u32 v8, s3, v6
	v_mad_u64_u32 v[2:3], s[2:3], s2, v6, v[2:3]
	s_addc_u32 s17, s17, 0
	v_add3_u32 v3, v8, v3, v7
	v_mul_lo_u32 v5, s24, v5
	v_mul_lo_u32 v7, s25, v6
	v_mad_u64_u32 v[36:37], s[2:3], s24, v6, v[36:37]
	s_add_u32 s18, s18, 8
	v_add3_u32 v37, v7, v37, v5
	s_addc_u32 s19, s19, 0
	v_mov_b64_e32 v[6:7], s[10:11]
	s_add_u32 s20, s20, 8
	v_cmp_ge_u64_e32 vcc, s[22:23], v[6:7]
	s_addc_u32 s21, s21, 0
	s_cbranch_vccnz .LBB0_9
; %bb.7:                                ;   in Loop: Header=BB0_2 Depth=1
	v_mov_b64_e32 v[6:7], v[38:39]
	s_branch .LBB0_2
.LBB0_8:
	v_mov_b64_e32 v[36:37], v[2:3]
	v_mov_b64_e32 v[38:39], v[6:7]
.LBB0_9:
	s_load_dwordx2 s[2:3], s[0:1], 0x28
	s_lshl_b64 s[16:17], s[10:11], 3
	s_add_u32 s10, s14, s16
	v_and_b32_e32 v1, 1, v1
	s_addc_u32 s11, s15, s17
	v_cmp_eq_u32_e32 vcc, 1, v1
	v_mov_b32_e32 v1, 0x463
	s_waitcnt lgkmcnt(0)
	v_cmp_gt_u64_e64 s[0:1], s[2:3], v[38:39]
	v_cmp_le_u64_e64 s[2:3], s[2:3], v[38:39]
                                        ; implicit-def: $vgpr40
	s_and_saveexec_b64 s[14:15], s[2:3]
	s_xor_b64 s[2:3], exec, s[14:15]
; %bb.10:
	s_mov_b32 s14, 0x2828283
	v_mul_hi_u32 v2, v0, s14
	v_mul_u32_u24_e32 v2, 0x66, v2
	v_sub_u32_e32 v40, v0, v2
                                        ; implicit-def: $vgpr0
                                        ; implicit-def: $vgpr2_vgpr3
; %bb.11:
	s_or_saveexec_b64 s[2:3], s[2:3]
	v_cndmask_b32_e32 v1, 0, v1, vcc
	v_lshlrev_b32_e32 v245, 3, v1
	s_xor_b64 exec, exec, s[2:3]
	s_cbranch_execz .LBB0_13
; %bb.12:
	s_add_u32 s12, s12, s16
	s_addc_u32 s13, s13, s17
	s_load_dwordx2 s[12:13], s[12:13], 0x0
	s_mov_b32 s14, 0x2828283
	s_waitcnt lgkmcnt(0)
	v_mul_lo_u32 v1, s13, v38
	v_mul_lo_u32 v6, s12, v39
	v_mad_u64_u32 v[4:5], s[12:13], s12, v38, 0
	v_add3_u32 v5, v5, v6, v1
	v_mul_hi_u32 v1, v0, s14
	v_mul_u32_u24_e32 v1, 0x66, v1
	v_sub_u32_e32 v40, v0, v1
	v_lshl_add_u64 v[0:1], v[4:5], 3, s[4:5]
	v_lshl_add_u64 v[0:1], v[2:3], 3, v[0:1]
	v_lshlrev_b32_e32 v2, 3, v40
	v_mov_b32_e32 v3, 0
	v_lshl_add_u64 v[0:1], v[0:1], 0, v[2:3]
	v_add_co_u32_e32 v12, vcc, 0x1000, v0
	global_load_dwordx2 v[4:5], v[0:1], off
	global_load_dwordx2 v[6:7], v[0:1], off offset:816
	global_load_dwordx2 v[8:9], v[0:1], off offset:1632
	;; [unrolled: 1-line block ×3, first 2 shown]
	v_addc_co_u32_e32 v13, vcc, 0, v1, vcc
	global_load_dwordx2 v[14:15], v[0:1], off offset:3264
	global_load_dwordx2 v[16:17], v[0:1], off offset:4080
	;; [unrolled: 1-line block ×7, first 2 shown]
	v_add3_u32 v0, 0, v245, v2
	v_add_u32_e32 v1, 0x400, v0
	v_add_u32_e32 v2, 0x800, v0
	v_add_u32_e32 v3, 0x1000, v0
	v_add_u32_e32 v12, 0x1800, v0
	s_waitcnt vmcnt(9)
	ds_write2_b64 v0, v[4:5], v[6:7] offset1:102
	s_waitcnt vmcnt(7)
	ds_write2_b64 v1, v[8:9], v[10:11] offset0:76 offset1:178
	s_waitcnt vmcnt(5)
	ds_write2_b64 v2, v[14:15], v[16:17] offset0:152 offset1:254
	;; [unrolled: 2-line block ×4, first 2 shown]
	s_waitcnt vmcnt(0)
	ds_write_b64 v0, v[26:27] offset:8160
.LBB0_13:
	s_or_b64 exec, exec, s[2:3]
	v_lshlrev_b32_e32 v171, 3, v40
	v_add_u32_e32 v70, 0, v171
	v_add_u32_e32 v244, v70, v245
	;; [unrolled: 1-line block ×3, first 2 shown]
	s_waitcnt lgkmcnt(0)
	s_barrier
	ds_read2_b64 v[12:15], v244 offset0:66 offset1:132
	ds_read2_b64 v[4:7], v0 offset0:94 offset1:160
	v_add_u32_e32 v170, 0, v245
	v_add_u32_e32 v243, v170, v171
	;; [unrolled: 1-line block ×4, first 2 shown]
	s_mov_b32 s4, 0xbf1a4643
	ds_read2_b64 v[8:11], v71 offset0:90 offset1:156
	ds_read2_b64 v[16:19], v172 offset0:70 offset1:136
	s_waitcnt lgkmcnt(2)
	v_pk_add_f32 v[50:51], v[6:7], v[12:13]
	v_pk_add_f32 v[52:53], v[12:13], v[6:7] neg_lo:[0,1] neg_hi:[0,1]
	ds_read_b64 v[0:1], v243
	s_mov_b32 s5, 0xbf4c4adb
	s_mov_b32 s12, 0xbe8c1d8e
	v_pk_add_f32 v[46:47], v[4:5], v[14:15]
	v_pk_add_f32 v[48:49], v[14:15], v[4:5] neg_lo:[0,1] neg_hi:[0,1]
	v_mov_b32_e32 v2, v53
	v_mov_b32_e32 v3, v51
	s_mov_b32 s2, s5
	s_mov_b32 s3, s4
	;; [unrolled: 1-line block ×3, first 2 shown]
	v_pk_mul_f32 v[96:97], v[2:3], s[2:3]
	v_mov_b32_e32 v102, v50
	v_mov_b32_e32 v103, v52
	;; [unrolled: 1-line block ×4, first 2 shown]
	s_mov_b32 s2, s13
	s_mov_b32 s3, s12
	v_pk_fma_f32 v[90:91], v[102:103], s[4:5], v[96:97]
	v_pk_fma_f32 v[2:3], v[102:103], s[4:5], v[96:97] neg_lo:[0,0,1] neg_hi:[0,0,1]
	v_pk_mul_f32 v[112:113], v[20:21], s[2:3]
	v_mov_b32_e32 v116, v46
	v_mov_b32_e32 v117, v48
	;; [unrolled: 1-line block ×3, first 2 shown]
	v_pk_fma_f32 v[114:115], v[116:117], s[12:13], v[112:113]
	v_pk_fma_f32 v[20:21], v[116:117], s[12:13], v[112:113] neg_lo:[0,0,1] neg_hi:[0,0,1]
	s_mov_b32 s14, 0x3f6eb680
	s_waitcnt lgkmcnt(1)
	v_pk_add_f32 v[42:43], v[10:11], v[16:17]
	v_pk_add_f32 v[44:45], v[16:17], v[10:11] neg_lo:[0,1] neg_hi:[0,1]
	s_waitcnt lgkmcnt(0)
	v_pk_add_f32 v[2:3], v[0:1], v[2:3]
	v_mov_b32_e32 v21, v115
	s_mov_b32 s15, 0xbeb8f4ab
	v_pk_add_f32 v[2:3], v[20:21], v[2:3]
	v_mov_b32_e32 v20, v45
	v_mov_b32_e32 v21, v43
	s_mov_b32 s2, s15
	s_mov_b32 s3, s14
	v_pk_mul_f32 v[118:119], v[20:21], s[2:3]
	v_mov_b32_e32 v122, v42
	v_mov_b32_e32 v123, v44
	v_pk_fma_f32 v[120:121], v[122:123], s[14:15], v[118:119]
	v_pk_fma_f32 v[20:21], v[122:123], s[14:15], v[118:119] neg_lo:[0,0,1] neg_hi:[0,0,1]
	s_mov_b32 s18, 0xbf59a7d5
	v_mov_b32_e32 v21, v121
	v_pk_add_f32 v[54:55], v[8:9], v[18:19]
	v_pk_add_f32 v[56:57], v[18:19], v[8:9] neg_lo:[0,1] neg_hi:[0,1]
	s_mov_b32 s19, 0xbf06c442
	v_pk_add_f32 v[2:3], v[20:21], v[2:3]
	v_mov_b32_e32 v20, v57
	v_mov_b32_e32 v21, v55
	s_mov_b32 s2, s19
	s_mov_b32 s3, s18
	v_pk_mul_f32 v[124:125], v[20:21], s[2:3]
	v_add_u32_e32 v20, 0x1400, v244
	v_add_u32_e32 v242, 0x800, v244
	ds_read2_b64 v[20:23], v20 offset0:86 offset1:152
	ds_read2_b64 v[24:27], v242 offset0:74 offset1:140
	v_mov_b32_e32 v126, v54
	v_mov_b32_e32 v127, v56
	v_pk_fma_f32 v[128:129], v[126:127], s[18:19], v[124:125]
	v_pk_fma_f32 v[28:29], v[126:127], s[18:19], v[124:125] neg_lo:[0,0,1] neg_hi:[0,0,1]
	s_mov_b32 s16, 0x3dbcf732
	v_mov_b32_e32 v29, v129
	s_waitcnt lgkmcnt(0)
	v_pk_add_f32 v[58:59], v[22:23], v[24:25]
	v_pk_add_f32 v[60:61], v[24:25], v[22:23] neg_lo:[0,1] neg_hi:[0,1]
	s_mov_b32 s17, 0x3f7ee86f
	v_pk_add_f32 v[2:3], v[28:29], v[2:3]
	v_mov_b32_e32 v28, v61
	v_mov_b32_e32 v29, v59
	s_mov_b32 s2, s17
	s_mov_b32 s3, s16
	v_pk_mul_f32 v[130:131], v[28:29], s[2:3]
	v_mov_b32_e32 v134, v58
	v_mov_b32_e32 v135, v60
	v_pk_fma_f32 v[132:133], v[134:135], s[16:17], v[130:131]
	v_pk_fma_f32 v[28:29], v[134:135], s[16:17], v[130:131] neg_lo:[0,0,1] neg_hi:[0,0,1]
	s_mov_b32 s20, 0x3f3d2fb0
	v_mov_b32_e32 v29, v133
	v_pk_add_f32 v[62:63], v[20:21], v[26:27]
	v_pk_add_f32 v[64:65], v[26:27], v[20:21] neg_lo:[0,1] neg_hi:[0,1]
	s_mov_b32 s21, 0xbf2c7751
	v_pk_add_f32 v[2:3], v[28:29], v[2:3]
	v_mov_b32_e32 v28, v65
	v_mov_b32_e32 v29, v63
	s_mov_b32 s2, s21
	s_mov_b32 s3, s20
	v_add_u32_e32 v41, 0xc00, v244
	v_pk_mul_f32 v[144:145], v[28:29], s[2:3]
	v_add_u32_e32 v173, 0x1000, v244
	ds_read2_b64 v[32:35], v41 offset0:78 offset1:144
	ds_read2_b64 v[28:31], v173 offset0:82 offset1:148
	v_mov_b32_e32 v150, v62
	v_mov_b32_e32 v151, v64
	v_pk_fma_f32 v[160:161], v[150:151], s[20:21], v[144:145]
	v_pk_fma_f32 v[66:67], v[150:151], s[20:21], v[144:145] neg_lo:[0,0,1] neg_hi:[0,0,1]
	s_mov_b32 s24, 0xbf7ba420
	v_mov_b32_e32 v67, v161
	v_pk_add_f32 v[2:3], v[66:67], v[2:3]
	s_waitcnt lgkmcnt(0)
	v_pk_add_f32 v[66:67], v[30:31], v[32:33]
	v_pk_add_f32 v[68:69], v[32:33], v[30:31] neg_lo:[0,1] neg_hi:[0,1]
	s_mov_b32 s25, 0xbe3c28d5
	v_mov_b32_e32 v72, v69
	v_mov_b32_e32 v73, v67
	s_mov_b32 s2, s25
	s_mov_b32 s3, s24
	v_pk_mul_f32 v[174:175], v[72:73], s[2:3]
	v_mov_b32_e32 v178, v66
	v_mov_b32_e32 v179, v68
	v_pk_fma_f32 v[176:177], v[178:179], s[24:25], v[174:175]
	v_pk_fma_f32 v[72:73], v[178:179], s[24:25], v[174:175] neg_lo:[0,0,1] neg_hi:[0,0,1]
	s_mov_b32 s22, 0x3ee437d1
	v_mov_b32_e32 v73, v177
	v_pk_add_f32 v[82:83], v[28:29], v[34:35]
	v_pk_add_f32 v[88:89], v[34:35], v[28:29] neg_lo:[0,1] neg_hi:[0,1]
	s_mov_b32 s23, 0x3f65296c
	v_pk_add_f32 v[2:3], v[72:73], v[2:3]
	v_mov_b32_e32 v72, v89
	v_mov_b32_e32 v73, v83
	s_mov_b32 s2, s23
	s_mov_b32 s3, s22
	v_pk_mul_f32 v[180:181], v[72:73], s[2:3]
	v_mov_b32_e32 v184, v82
	v_mov_b32_e32 v185, v88
	v_pk_fma_f32 v[182:183], v[184:185], s[22:23], v[180:181]
	v_pk_fma_f32 v[72:73], v[184:185], s[22:23], v[180:181] neg_lo:[0,0,1] neg_hi:[0,0,1]
	s_movk_i32 s2, 0x42
	v_mov_b32_e32 v73, v183
	v_pk_add_f32 v[2:3], v[72:73], v[2:3]
	v_cmp_gt_u32_e32 vcc, s2, v40
	s_barrier
	s_and_saveexec_b64 s[2:3], vcc
	s_cbranch_execz .LBB0_15
; %bb.14:
	v_pk_add_f32 v[12:13], v[0:1], v[12:13]
	s_mov_b32 s34, s15
	v_pk_add_f32 v[12:13], v[12:13], v[14:15]
	v_pk_mul_f32 v[14:15], v[52:53], s[34:35] op_sel_hi:[1,0]
	v_pk_add_f32 v[12:13], v[12:13], v[16:17]
	s_mov_b32 s40, s21
	v_pk_add_f32 v[12:13], v[12:13], v[18:19]
	v_pk_mul_f32 v[72:73], v[48:49], s[40:41] op_sel_hi:[1,0]
	;; [unrolled: 4-line block ×6, first 2 shown]
	v_pk_add_f32 v[8:9], v[12:13], v[8:9]
	s_mov_b32 s30, s19
	v_pk_add_f32 v[8:9], v[8:9], v[10:11]
	v_pk_fma_f32 v[10:11], v[46:47], s[20:21], v[72:73] op_sel:[0,0,1] op_sel_hi:[1,0,0] neg_lo:[0,0,1] neg_hi:[0,0,1]
	v_pk_add_f32 v[4:5], v[8:9], v[4:5]
	v_pk_mul_f32 v[32:33], v[68:69], s[30:31] op_sel_hi:[1,0]
	v_pk_add_f32 v[74:75], v[4:5], v[6:7]
	v_pk_fma_f32 v[4:5], v[50:51], s[14:15], v[14:15] op_sel:[0,0,1] op_sel_hi:[1,0,0]
	v_pk_fma_f32 v[6:7], v[50:51], s[14:15], v[14:15] op_sel:[0,0,1] op_sel_hi:[1,0,0] neg_lo:[0,0,1] neg_hi:[0,0,1]
	v_mov_b32_e32 v8, v4
	v_mov_b32_e32 v9, v7
	v_pk_fma_f32 v[14:15], v[46:47], s[20:21], v[72:73] op_sel:[0,0,1] op_sel_hi:[1,0,0]
	v_pk_add_f32 v[12:13], v[0:1], v[8:9]
	v_accvgpr_write_b32 a1, v15
	v_mov_b32_e32 v15, v11
	v_pk_add_f32 v[20:21], v[14:15], v[12:13]
	v_pk_fma_f32 v[8:9], v[42:43], s[22:23], v[16:17] op_sel:[0,0,1] op_sel_hi:[1,0,0]
	v_pk_fma_f32 v[14:15], v[42:43], s[22:23], v[16:17] op_sel:[0,0,1] op_sel_hi:[1,0,0] neg_lo:[0,0,1] neg_hi:[0,0,1]
	v_mov_b32_e32 v16, v8
	v_mov_b32_e32 v17, v15
	v_pk_add_f32 v[20:21], v[16:17], v[20:21]
	v_pk_fma_f32 v[16:17], v[54:55], s[16:17], v[18:19] op_sel:[0,0,1] op_sel_hi:[1,0,0]
	v_pk_fma_f32 v[18:19], v[54:55], s[16:17], v[18:19] op_sel:[0,0,1] op_sel_hi:[1,0,0] neg_lo:[0,0,1] neg_hi:[0,0,1]
	v_mov_b32_e32 v22, v16
	;; [unrolled: 5-line block ×4, first 2 shown]
	v_mov_b32_e32 v31, v27
	v_pk_add_f32 v[34:35], v[30:31], v[28:29]
	v_pk_fma_f32 v[28:29], v[66:67], s[18:19], v[32:33] op_sel:[0,0,1] op_sel_hi:[1,0,0]
	v_pk_fma_f32 v[30:31], v[66:67], s[18:19], v[32:33] op_sel:[0,0,1] op_sel_hi:[1,0,0] neg_lo:[0,0,1] neg_hi:[0,0,1]
	s_mov_b32 s36, s25
	v_mov_b32_e32 v32, v28
	v_mov_b32_e32 v33, v31
	v_pk_add_f32 v[72:73], v[32:33], v[34:35]
	v_pk_mul_f32 v[34:35], v[88:89], s[36:37] op_sel_hi:[1,0]
	v_lshlrev_b32_e32 v4, 7, v40
	v_pk_fma_f32 v[32:33], v[82:83], s[24:25], v[34:35] op_sel:[0,0,1] op_sel_hi:[1,0,0]
	v_pk_fma_f32 v[34:35], v[82:83], s[24:25], v[34:35] op_sel:[0,0,1] op_sel_hi:[1,0,0] neg_lo:[0,0,1] neg_hi:[0,0,1]
	v_mov_b32_e32 v76, v32
	v_mov_b32_e32 v77, v35
	v_pk_add_f32 v[72:73], v[76:77], v[72:73]
	v_add3_u32 v4, v70, v4, v245
	ds_write2_b64 v4, v[74:75], v[72:73] offset1:1
	v_pk_mul_f32 v[72:73], v[52:53], s[40:41] op_sel_hi:[1,0]
	v_pk_mul_f32 v[76:77], v[48:49], s[38:39] op_sel_hi:[1,0]
	v_pk_fma_f32 v[12:13], v[50:51], s[20:21], v[72:73] op_sel:[0,0,1] op_sel_hi:[1,0,0]
	v_pk_fma_f32 v[72:73], v[50:51], s[20:21], v[72:73] op_sel:[0,0,1] op_sel_hi:[1,0,0] neg_lo:[0,0,1] neg_hi:[0,0,1]
	v_mov_b32_e32 v74, v12
	v_mov_b32_e32 v75, v73
	v_pk_add_f32 v[78:79], v[0:1], v[74:75]
	v_pk_fma_f32 v[74:75], v[46:47], s[16:17], v[76:77] op_sel:[0,0,1] op_sel_hi:[1,0,0]
	v_pk_fma_f32 v[76:77], v[46:47], s[16:17], v[76:77] op_sel:[0,0,1] op_sel_hi:[1,0,0] neg_lo:[0,0,1] neg_hi:[0,0,1]
	v_mov_b32_e32 v80, v74
	v_mov_b32_e32 v81, v77
	v_pk_add_f32 v[84:85], v[80:81], v[78:79]
	v_pk_mul_f32 v[80:81], v[44:45], s[28:29] op_sel_hi:[1,0]
	s_mov_b32 s48, 0x3f06c442
	v_pk_fma_f32 v[78:79], v[42:43], s[4:5], v[80:81] op_sel:[0,0,1] op_sel_hi:[1,0,0]
	v_pk_fma_f32 v[80:81], v[42:43], s[4:5], v[80:81] op_sel:[0,0,1] op_sel_hi:[1,0,0] neg_lo:[0,0,1] neg_hi:[0,0,1]
	v_mov_b32_e32 v86, v78
	v_mov_b32_e32 v87, v81
	v_pk_add_f32 v[92:93], v[86:87], v[84:85]
	v_pk_mul_f32 v[86:87], v[56:57], s[36:37] op_sel_hi:[1,0]
	s_mov_b32 s50, s13
	;; [unrolled: 7-line block ×4, first 2 shown]
	v_pk_fma_f32 v[98:99], v[62:63], s[12:13], v[100:101] op_sel:[0,0,1] op_sel_hi:[1,0,0]
	v_pk_fma_f32 v[100:101], v[62:63], s[12:13], v[100:101] op_sel:[0,0,1] op_sel_hi:[1,0,0] neg_lo:[0,0,1] neg_hi:[0,0,1]
	v_mov_b32_e32 v106, v98
	v_mov_b32_e32 v107, v101
	v_pk_add_f32 v[108:109], v[106:107], v[104:105]
	v_pk_mul_f32 v[106:107], v[68:69], s[40:41] op_sel_hi:[1,0]
	v_pk_mul_f32 v[142:143], v[48:49], s[28:29] op_sel_hi:[1,0]
	v_pk_fma_f32 v[104:105], v[66:67], s[22:23], v[106:107] op_sel:[0,0,1] op_sel_hi:[1,0,0]
	v_pk_fma_f32 v[106:107], v[66:67], s[22:23], v[106:107] op_sel:[0,0,1] op_sel_hi:[1,0,0] neg_lo:[0,0,1] neg_hi:[0,0,1]
	v_mov_b32_e32 v110, v104
	v_mov_b32_e32 v111, v107
	v_pk_add_f32 v[136:137], v[110:111], v[108:109]
	v_pk_mul_f32 v[110:111], v[88:89], s[42:43] op_sel_hi:[1,0]
	s_mov_b32 s46, 0x3e3c28d5
	v_pk_fma_f32 v[108:109], v[82:83], s[14:15], v[110:111] op_sel:[0,0,1] op_sel_hi:[1,0,0]
	v_pk_fma_f32 v[110:111], v[82:83], s[14:15], v[110:111] op_sel:[0,0,1] op_sel_hi:[1,0,0] neg_lo:[0,0,1] neg_hi:[0,0,1]
	v_mov_b32_e32 v138, v108
	v_mov_b32_e32 v139, v111
	v_pk_add_f32 v[186:187], v[138:139], v[136:137]
	v_pk_mul_f32 v[138:139], v[52:53], s[44:45] op_sel_hi:[1,0]
	v_pk_mul_f32 v[102:103], v[102:103], s[4:5]
	v_pk_fma_f32 v[136:137], v[50:51], s[22:23], v[138:139] op_sel:[0,0,1] op_sel_hi:[1,0,0]
	v_pk_fma_f32 v[138:139], v[50:51], s[22:23], v[138:139] op_sel:[0,0,1] op_sel_hi:[1,0,0] neg_lo:[0,0,1] neg_hi:[0,0,1]
	v_mov_b32_e32 v140, v136
	v_mov_b32_e32 v141, v139
	v_pk_add_f32 v[146:147], v[0:1], v[140:141]
	v_pk_fma_f32 v[140:141], v[46:47], s[4:5], v[142:143] op_sel:[0,0,1] op_sel_hi:[1,0,0]
	v_pk_fma_f32 v[142:143], v[46:47], s[4:5], v[142:143] op_sel:[0,0,1] op_sel_hi:[1,0,0] neg_lo:[0,0,1] neg_hi:[0,0,1]
	v_mov_b32_e32 v148, v140
	v_mov_b32_e32 v149, v143
	v_pk_add_f32 v[152:153], v[148:149], v[146:147]
	v_pk_mul_f32 v[148:149], v[44:45], s[46:47] op_sel_hi:[1,0]
	s_mov_b32 s46, 0x3f2c7751
	v_pk_fma_f32 v[146:147], v[42:43], s[24:25], v[148:149] op_sel:[0,0,1] op_sel_hi:[1,0,0]
	v_pk_fma_f32 v[148:149], v[42:43], s[24:25], v[148:149] op_sel:[0,0,1] op_sel_hi:[1,0,0] neg_lo:[0,0,1] neg_hi:[0,0,1]
	v_mov_b32_e32 v154, v146
	v_mov_b32_e32 v155, v149
	v_pk_add_f32 v[156:157], v[154:155], v[152:153]
	v_pk_mul_f32 v[154:155], v[56:57], s[50:51] op_sel_hi:[1,0]
	v_pk_add_f32 v[96:97], v[96:97], v[102:103] neg_lo:[0,1] neg_hi:[0,1]
	v_pk_fma_f32 v[152:153], v[54:55], s[12:13], v[154:155] op_sel:[0,0,1] op_sel_hi:[1,0,0]
	v_pk_fma_f32 v[154:155], v[54:55], s[12:13], v[154:155] op_sel:[0,0,1] op_sel_hi:[1,0,0] neg_lo:[0,0,1] neg_hi:[0,0,1]
	v_mov_b32_e32 v158, v152
	v_mov_b32_e32 v159, v155
	v_pk_add_f32 v[162:163], v[158:159], v[156:157]
	v_pk_mul_f32 v[158:159], v[60:61], s[46:47] op_sel_hi:[1,0]
	v_mov_b32_e32 v91, v97
	v_pk_fma_f32 v[156:157], v[58:59], s[20:21], v[158:159] op_sel:[0,0,1] op_sel_hi:[1,0,0]
	v_pk_fma_f32 v[158:159], v[58:59], s[20:21], v[158:159] op_sel:[0,0,1] op_sel_hi:[1,0,0] neg_lo:[0,0,1] neg_hi:[0,0,1]
	v_mov_b32_e32 v164, v156
	v_mov_b32_e32 v165, v159
	v_pk_add_f32 v[166:167], v[164:165], v[162:163]
	v_pk_mul_f32 v[164:165], v[64:65], s[34:35] op_sel_hi:[1,0]
	v_pk_mul_f32 v[96:97], v[116:117], s[12:13]
	v_pk_fma_f32 v[162:163], v[62:63], s[14:15], v[164:165] op_sel:[0,0,1] op_sel_hi:[1,0,0]
	v_pk_fma_f32 v[164:165], v[62:63], s[14:15], v[164:165] op_sel:[0,0,1] op_sel_hi:[1,0,0] neg_lo:[0,0,1] neg_hi:[0,0,1]
	v_mov_b32_e32 v168, v162
	v_mov_b32_e32 v169, v165
	v_pk_add_f32 v[96:97], v[112:113], v[96:97] neg_lo:[0,1] neg_hi:[0,1]
	v_mov_b32_e32 v7, v170
	v_mov_b32_e32 v11, v171
	v_pk_add_f32 v[170:171], v[168:169], v[166:167]
	v_pk_mul_f32 v[168:169], v[68:69], s[38:39] op_sel_hi:[1,0]
	v_mov_b32_e32 v115, v97
	v_pk_mul_f32 v[96:97], v[122:123], s[14:15]
	v_pk_fma_f32 v[166:167], v[66:67], s[16:17], v[168:169] op_sel:[0,0,1] op_sel_hi:[1,0,0]
	v_pk_fma_f32 v[168:169], v[66:67], s[16:17], v[168:169] op_sel:[0,0,1] op_sel_hi:[1,0,0] neg_lo:[0,0,1] neg_hi:[0,0,1]
	v_pk_add_f32 v[96:97], v[118:119], v[96:97] neg_lo:[0,1] neg_hi:[0,1]
	v_mov_b32_e32 v12, v172
	v_mov_b32_e32 v172, v166
	;; [unrolled: 1-line block ×5, first 2 shown]
	v_pk_mul_f32 v[96:97], v[126:127], s[18:19]
	v_pk_add_f32 v[188:189], v[172:173], v[170:171]
	v_pk_mul_f32 v[172:173], v[88:89], s[30:31] op_sel_hi:[1,0]
	v_pk_add_f32 v[96:97], v[124:125], v[96:97] neg_lo:[0,1] neg_hi:[0,1]
	v_pk_fma_f32 v[170:171], v[82:83], s[18:19], v[172:173] op_sel:[0,0,1] op_sel_hi:[1,0,0]
	v_pk_fma_f32 v[172:173], v[82:83], s[18:19], v[172:173] op_sel:[0,0,1] op_sel_hi:[1,0,0] neg_lo:[0,0,1] neg_hi:[0,0,1]
	v_mov_b32_e32 v129, v97
	v_pk_mul_f32 v[96:97], v[134:135], s[16:17]
	v_mov_b32_e32 v190, v170
	v_mov_b32_e32 v191, v173
	v_pk_add_f32 v[96:97], v[130:131], v[96:97] neg_lo:[0,1] neg_hi:[0,1]
	v_pk_add_f32 v[188:189], v[190:191], v[188:189]
	v_mov_b32_e32 v133, v97
	v_pk_mul_f32 v[96:97], v[150:151], s[20:21]
	ds_write2_b64 v4, v[186:187], v[188:189] offset0:2 offset1:3
	v_pk_mul_f32 v[186:187], v[52:53], s[38:39] op_sel_hi:[1,0]
	v_pk_add_f32 v[96:97], v[144:145], v[96:97] neg_lo:[0,1] neg_hi:[0,1]
	v_pk_fma_f32 v[188:189], v[50:51], s[16:17], v[186:187] op_sel:[0,0,1] op_sel_hi:[1,0,0]
	v_pk_fma_f32 v[186:187], v[50:51], s[16:17], v[186:187] op_sel:[0,0,1] op_sel_hi:[1,0,0] neg_lo:[0,0,1] neg_hi:[0,0,1]
	v_mov_b32_e32 v161, v97
	v_pk_mul_f32 v[96:97], v[178:179], s[24:25]
	v_mov_b32_e32 v190, v188
	v_mov_b32_e32 v191, v187
	v_pk_add_f32 v[96:97], v[174:175], v[96:97] neg_lo:[0,1] neg_hi:[0,1]
	v_pk_add_f32 v[194:195], v[0:1], v[190:191]
	v_pk_mul_f32 v[190:191], v[48:49], s[36:37] op_sel_hi:[1,0]
	v_mov_b32_e32 v177, v97
	v_pk_mul_f32 v[96:97], v[184:185], s[22:23]
	v_pk_fma_f32 v[192:193], v[46:47], s[24:25], v[190:191] op_sel:[0,0,1] op_sel_hi:[1,0,0]
	v_pk_fma_f32 v[190:191], v[46:47], s[24:25], v[190:191] op_sel:[0,0,1] op_sel_hi:[1,0,0] neg_lo:[0,0,1] neg_hi:[0,0,1]
	v_pk_add_f32 v[96:97], v[180:181], v[96:97] neg_lo:[0,1] neg_hi:[0,1]
	v_mov_b32_e32 v196, v192
	v_mov_b32_e32 v197, v191
	v_pk_add_f32 v[90:91], v[0:1], v[90:91]
	v_mov_b32_e32 v183, v97
	v_pk_mul_f32 v[96:97], v[52:53], s[30:31] op_sel_hi:[1,0]
	v_pk_add_f32 v[198:199], v[196:197], v[194:195]
	v_pk_mul_f32 v[196:197], v[44:45], s[50:51] op_sel_hi:[1,0]
	v_pk_add_f32 v[90:91], v[114:115], v[90:91]
	v_pk_fma_f32 v[102:103], v[50:51], s[18:19], v[96:97] op_sel:[0,0,1] op_sel_hi:[1,0,0]
	v_pk_fma_f32 v[96:97], v[50:51], s[18:19], v[96:97] op_sel:[0,0,1] op_sel_hi:[1,0,0] neg_lo:[0,0,1] neg_hi:[0,0,1]
	v_pk_mul_f32 v[114:115], v[48:49], s[40:41] op_sel_hi:[1,0]
	v_pk_fma_f32 v[194:195], v[42:43], s[12:13], v[196:197] op_sel:[0,0,1] op_sel_hi:[1,0,0]
	v_pk_fma_f32 v[196:197], v[42:43], s[12:13], v[196:197] op_sel:[0,0,1] op_sel_hi:[1,0,0] neg_lo:[0,0,1] neg_hi:[0,0,1]
	v_mov_b32_e32 v112, v102
	v_mov_b32_e32 v113, v97
	v_pk_fma_f32 v[116:117], v[46:47], s[22:23], v[114:115] op_sel:[0,0,1] op_sel_hi:[1,0,0]
	v_pk_fma_f32 v[114:115], v[46:47], s[22:23], v[114:115] op_sel:[0,0,1] op_sel_hi:[1,0,0] neg_lo:[0,0,1] neg_hi:[0,0,1]
	v_mov_b32_e32 v200, v194
	v_mov_b32_e32 v201, v197
	v_pk_add_f32 v[112:113], v[0:1], v[112:113]
	v_mov_b32_e32 v118, v116
	v_mov_b32_e32 v119, v115
	v_pk_add_f32 v[202:203], v[200:201], v[198:199]
	v_pk_mul_f32 v[200:201], v[56:57], s[42:43] op_sel_hi:[1,0]
	v_pk_add_f32 v[112:113], v[118:119], v[112:113]
	v_pk_mul_f32 v[118:119], v[44:45], s[38:39] op_sel_hi:[1,0]
	v_pk_fma_f32 v[198:199], v[54:55], s[14:15], v[200:201] op_sel:[0,0,1] op_sel_hi:[1,0,0]
	v_pk_fma_f32 v[200:201], v[54:55], s[14:15], v[200:201] op_sel:[0,0,1] op_sel_hi:[1,0,0] neg_lo:[0,0,1] neg_hi:[0,0,1]
	v_pk_add_f32 v[90:91], v[120:121], v[90:91]
	v_pk_fma_f32 v[120:121], v[42:43], s[16:17], v[118:119] op_sel:[0,0,1] op_sel_hi:[1,0,0]
	v_pk_fma_f32 v[118:119], v[42:43], s[16:17], v[118:119] op_sel:[0,0,1] op_sel_hi:[1,0,0] neg_lo:[0,0,1] neg_hi:[0,0,1]
	v_mov_b32_e32 v204, v198
	v_mov_b32_e32 v205, v201
	s_mov_b32 s50, 0x3f4c4adb
	v_mov_b32_e32 v122, v120
	v_mov_b32_e32 v123, v119
	v_pk_add_f32 v[206:207], v[204:205], v[202:203]
	v_pk_mul_f32 v[204:205], v[60:61], s[44:45] op_sel_hi:[1,0]
	v_pk_add_f32 v[112:113], v[122:123], v[112:113]
	v_pk_mul_f32 v[122:123], v[56:57], s[50:51] op_sel_hi:[1,0]
	v_pk_fma_f32 v[202:203], v[58:59], s[22:23], v[204:205] op_sel:[0,0,1] op_sel_hi:[1,0,0]
	v_pk_fma_f32 v[204:205], v[58:59], s[22:23], v[204:205] op_sel:[0,0,1] op_sel_hi:[1,0,0] neg_lo:[0,0,1] neg_hi:[0,0,1]
	v_pk_fma_f32 v[124:125], v[54:55], s[4:5], v[122:123] op_sel:[0,0,1] op_sel_hi:[1,0,0]
	v_pk_fma_f32 v[122:123], v[54:55], s[4:5], v[122:123] op_sel:[0,0,1] op_sel_hi:[1,0,0] neg_lo:[0,0,1] neg_hi:[0,0,1]
	v_mov_b32_e32 v208, v202
	v_mov_b32_e32 v209, v205
	v_mov_b32_e32 v126, v124
	v_mov_b32_e32 v127, v123
	v_pk_add_f32 v[210:211], v[208:209], v[206:207]
	v_pk_mul_f32 v[208:209], v[64:65], s[30:31] op_sel_hi:[1,0]
	v_pk_add_f32 v[112:113], v[126:127], v[112:113]
	v_pk_mul_f32 v[126:127], v[60:61], s[34:35] op_sel_hi:[1,0]
	v_pk_fma_f32 v[206:207], v[62:63], s[18:19], v[208:209] op_sel:[0,0,1] op_sel_hi:[1,0,0]
	v_pk_fma_f32 v[208:209], v[62:63], s[18:19], v[208:209] op_sel:[0,0,1] op_sel_hi:[1,0,0] neg_lo:[0,0,1] neg_hi:[0,0,1]
	v_pk_add_f32 v[90:91], v[128:129], v[90:91]
	v_pk_fma_f32 v[128:129], v[58:59], s[14:15], v[126:127] op_sel:[0,0,1] op_sel_hi:[1,0,0]
	v_pk_fma_f32 v[126:127], v[58:59], s[14:15], v[126:127] op_sel:[0,0,1] op_sel_hi:[1,0,0] neg_lo:[0,0,1] neg_hi:[0,0,1]
	v_mov_b32_e32 v212, v206
	v_mov_b32_e32 v213, v209
	v_mov_b32_e32 v130, v128
	v_mov_b32_e32 v131, v127
	v_pk_add_f32 v[214:215], v[212:213], v[210:211]
	v_pk_mul_f32 v[212:213], v[68:69], s[50:51] op_sel_hi:[1,0]
	v_pk_add_f32 v[112:113], v[130:131], v[112:113]
	v_pk_mul_f32 v[130:131], v[64:65], s[36:37] op_sel_hi:[1,0]
	v_pk_fma_f32 v[210:211], v[66:67], s[4:5], v[212:213] op_sel:[0,0,1] op_sel_hi:[1,0,0]
	v_pk_fma_f32 v[212:213], v[66:67], s[4:5], v[212:213] op_sel:[0,0,1] op_sel_hi:[1,0,0] neg_lo:[0,0,1] neg_hi:[0,0,1]
	v_pk_add_f32 v[90:91], v[132:133], v[90:91]
	v_pk_fma_f32 v[132:133], v[62:63], s[24:25], v[130:131] op_sel:[0,0,1] op_sel_hi:[1,0,0]
	v_pk_fma_f32 v[130:131], v[62:63], s[24:25], v[130:131] op_sel:[0,0,1] op_sel_hi:[1,0,0] neg_lo:[0,0,1] neg_hi:[0,0,1]
	v_mov_b32_e32 v216, v210
	v_mov_b32_e32 v217, v213
	;; [unrolled: 1-line block ×4, first 2 shown]
	v_pk_add_f32 v[218:219], v[216:217], v[214:215]
	v_pk_mul_f32 v[216:217], v[88:89], s[46:47] op_sel_hi:[1,0]
	v_pk_add_f32 v[112:113], v[134:135], v[112:113]
	v_pk_mul_f32 v[134:135], v[68:69], s[46:47] op_sel_hi:[1,0]
	v_pk_fma_f32 v[214:215], v[82:83], s[20:21], v[216:217] op_sel:[0,0,1] op_sel_hi:[1,0,0]
	v_pk_fma_f32 v[216:217], v[82:83], s[20:21], v[216:217] op_sel:[0,0,1] op_sel_hi:[1,0,0] neg_lo:[0,0,1] neg_hi:[0,0,1]
	v_pk_fma_f32 v[144:145], v[66:67], s[20:21], v[134:135] op_sel:[0,0,1] op_sel_hi:[1,0,0]
	v_pk_fma_f32 v[134:135], v[66:67], s[20:21], v[134:135] op_sel:[0,0,1] op_sel_hi:[1,0,0] neg_lo:[0,0,1] neg_hi:[0,0,1]
	v_mov_b32_e32 v220, v214
	v_mov_b32_e32 v221, v217
	;; [unrolled: 1-line block ×4, first 2 shown]
	v_pk_add_f32 v[252:253], v[220:221], v[218:219]
	v_pk_mul_f32 v[218:219], v[52:53], s[26:27] op_sel_hi:[1,0]
	v_pk_add_f32 v[112:113], v[150:151], v[112:113]
	v_pk_mul_f32 v[150:151], v[88:89], s[26:27] op_sel_hi:[1,0]
	v_pk_fma_f32 v[220:221], v[50:51], s[12:13], v[218:219] op_sel:[0,0,1] op_sel_hi:[1,0,0]
	v_pk_fma_f32 v[218:219], v[50:51], s[12:13], v[218:219] op_sel:[0,0,1] op_sel_hi:[1,0,0] neg_lo:[0,0,1] neg_hi:[0,0,1]
	v_pk_add_f32 v[90:91], v[160:161], v[90:91]
	v_pk_fma_f32 v[160:161], v[82:83], s[12:13], v[150:151] op_sel:[0,0,1] op_sel_hi:[1,0,0]
	v_pk_fma_f32 v[150:151], v[82:83], s[12:13], v[150:151] op_sel:[0,0,1] op_sel_hi:[1,0,0] neg_lo:[0,0,1] neg_hi:[0,0,1]
	v_mov_b32_e32 v222, v220
	v_mov_b32_e32 v223, v219
	v_pk_add_f32 v[90:91], v[176:177], v[90:91]
	v_mov_b32_e32 v174, v160
	v_mov_b32_e32 v175, v151
	v_pk_add_f32 v[226:227], v[0:1], v[222:223]
	v_pk_mul_f32 v[222:223], v[48:49], s[48:49] op_sel_hi:[1,0]
	v_pk_add_f32 v[90:91], v[182:183], v[90:91]
	v_pk_add_f32 v[112:113], v[174:175], v[112:113]
	v_pk_mul_f32 v[52:53], v[52:53], s[36:37] op_sel_hi:[1,0]
	v_pk_fma_f32 v[224:225], v[46:47], s[18:19], v[222:223] op_sel:[0,0,1] op_sel_hi:[1,0,0]
	v_pk_fma_f32 v[222:223], v[46:47], s[18:19], v[222:223] op_sel:[0,0,1] op_sel_hi:[1,0,0] neg_lo:[0,0,1] neg_hi:[0,0,1]
	ds_write2_b64 v4, v[90:91], v[112:113] offset0:6 offset1:7
	v_pk_fma_f32 v[90:91], v[50:51], s[24:25], v[52:53] op_sel:[0,0,1] op_sel_hi:[1,0,0]
	v_pk_fma_f32 v[50:51], v[50:51], s[24:25], v[52:53] op_sel:[0,0,1] op_sel_hi:[1,0,0] neg_lo:[0,0,1] neg_hi:[0,0,1]
	v_pk_mul_f32 v[48:49], v[48:49], s[42:43] op_sel_hi:[1,0]
	v_mov_b32_e32 v228, v224
	v_mov_b32_e32 v229, v223
	v_pk_fma_f32 v[52:53], v[46:47], s[14:15], v[48:49] op_sel:[0,0,1] op_sel_hi:[1,0,0]
	v_pk_fma_f32 v[46:47], v[46:47], s[14:15], v[48:49] op_sel:[0,0,1] op_sel_hi:[1,0,0] neg_lo:[0,0,1] neg_hi:[0,0,1]
	v_mov_b32_e32 v48, v90
	v_mov_b32_e32 v49, v51
	v_pk_add_f32 v[230:231], v[228:229], v[226:227]
	v_pk_mul_f32 v[228:229], v[44:45], s[46:47] op_sel_hi:[1,0]
	v_pk_add_f32 v[48:49], v[0:1], v[48:49]
	v_mov_b32_e32 v112, v52
	v_mov_b32_e32 v113, v47
	v_pk_mul_f32 v[44:45], v[44:45], s[30:31] op_sel_hi:[1,0]
	v_pk_fma_f32 v[226:227], v[42:43], s[20:21], v[228:229] op_sel:[0,0,1] op_sel_hi:[1,0,0]
	v_pk_fma_f32 v[228:229], v[42:43], s[20:21], v[228:229] op_sel:[0,0,1] op_sel_hi:[1,0,0] neg_lo:[0,0,1] neg_hi:[0,0,1]
	v_pk_add_f32 v[48:49], v[112:113], v[48:49]
	v_pk_fma_f32 v[112:113], v[42:43], s[18:19], v[44:45] op_sel:[0,0,1] op_sel_hi:[1,0,0]
	v_pk_fma_f32 v[42:43], v[42:43], s[18:19], v[44:45] op_sel:[0,0,1] op_sel_hi:[1,0,0] neg_lo:[0,0,1] neg_hi:[0,0,1]
	v_mov_b32_e32 v44, v112
	v_mov_b32_e32 v45, v43
	v_mov_b32_e32 v232, v226
	v_mov_b32_e32 v233, v229
	v_pk_add_f32 v[44:45], v[44:45], v[48:49]
	v_pk_mul_f32 v[48:49], v[56:57], s[46:47] op_sel_hi:[1,0]
	v_pk_add_f32 v[234:235], v[232:233], v[230:231]
	v_pk_mul_f32 v[232:233], v[56:57], s[44:45] op_sel_hi:[1,0]
	v_pk_fma_f32 v[56:57], v[54:55], s[20:21], v[48:49] op_sel:[0,0,1] op_sel_hi:[1,0,0]
	v_pk_fma_f32 v[48:49], v[54:55], s[20:21], v[48:49] op_sel:[0,0,1] op_sel_hi:[1,0,0] neg_lo:[0,0,1] neg_hi:[0,0,1]
	v_pk_fma_f32 v[230:231], v[54:55], s[22:23], v[232:233] op_sel:[0,0,1] op_sel_hi:[1,0,0]
	v_pk_fma_f32 v[232:233], v[54:55], s[22:23], v[232:233] op_sel:[0,0,1] op_sel_hi:[1,0,0] neg_lo:[0,0,1] neg_hi:[0,0,1]
	v_mov_b32_e32 v54, v56
	v_mov_b32_e32 v55, v49
	;; [unrolled: 1-line block ×4, first 2 shown]
	v_pk_add_f32 v[44:45], v[54:55], v[44:45]
	v_pk_mul_f32 v[54:55], v[60:61], s[28:29] op_sel_hi:[1,0]
	v_pk_add_f32 v[238:239], v[236:237], v[234:235]
	v_pk_mul_f32 v[236:237], v[60:61], s[36:37] op_sel_hi:[1,0]
	v_pk_fma_f32 v[60:61], v[58:59], s[4:5], v[54:55] op_sel:[0,0,1] op_sel_hi:[1,0,0]
	v_pk_fma_f32 v[54:55], v[58:59], s[4:5], v[54:55] op_sel:[0,0,1] op_sel_hi:[1,0,0] neg_lo:[0,0,1] neg_hi:[0,0,1]
	v_pk_fma_f32 v[234:235], v[58:59], s[24:25], v[236:237] op_sel:[0,0,1] op_sel_hi:[1,0,0]
	v_pk_fma_f32 v[236:237], v[58:59], s[24:25], v[236:237] op_sel:[0,0,1] op_sel_hi:[1,0,0] neg_lo:[0,0,1] neg_hi:[0,0,1]
	v_mov_b32_e32 v58, v60
	v_mov_b32_e32 v59, v55
	;; [unrolled: 1-line block ×4, first 2 shown]
	s_mov_b32 s44, s17
	v_pk_add_f32 v[44:45], v[58:59], v[44:45]
	v_pk_mul_f32 v[58:59], v[64:65], s[40:41] op_sel_hi:[1,0]
	v_pk_add_f32 v[254:255], v[240:241], v[238:239]
	v_pk_mul_f32 v[240:241], v[64:65], s[44:45] op_sel_hi:[1,0]
	v_pk_fma_f32 v[64:65], v[62:63], s[22:23], v[58:59] op_sel:[0,0,1] op_sel_hi:[1,0,0]
	v_pk_fma_f32 v[58:59], v[62:63], s[22:23], v[58:59] op_sel:[0,0,1] op_sel_hi:[1,0,0] neg_lo:[0,0,1] neg_hi:[0,0,1]
	v_mov_b32_e32 v51, v91
	v_accvgpr_write_b32 a3, v9
	v_pk_fma_f32 v[8:9], v[62:63], s[16:17], v[240:241] op_sel:[0,0,1] op_sel_hi:[1,0,0]
	v_pk_fma_f32 v[240:241], v[62:63], s[16:17], v[240:241] op_sel:[0,0,1] op_sel_hi:[1,0,0] neg_lo:[0,0,1] neg_hi:[0,0,1]
	v_mov_b32_e32 v62, v64
	v_mov_b32_e32 v63, v59
	;; [unrolled: 1-line block ×3, first 2 shown]
	v_pk_add_f32 v[50:51], v[0:1], v[50:51]
	v_mov_b32_e32 v238, v8
	v_mov_b32_e32 v239, v241
	v_pk_add_f32 v[44:45], v[62:63], v[44:45]
	v_pk_mul_f32 v[62:63], v[68:69], s[26:27] op_sel_hi:[1,0]
	v_pk_add_f32 v[46:47], v[46:47], v[50:51]
	v_mov_b32_e32 v43, v113
	v_pk_add_f32 v[238:239], v[238:239], v[254:255]
	v_pk_mul_f32 v[254:255], v[68:69], s[34:35] op_sel_hi:[1,0]
	v_pk_fma_f32 v[68:69], v[66:67], s[12:13], v[62:63] op_sel:[0,0,1] op_sel_hi:[1,0,0]
	v_pk_fma_f32 v[62:63], v[66:67], s[12:13], v[62:63] op_sel:[0,0,1] op_sel_hi:[1,0,0] neg_lo:[0,0,1] neg_hi:[0,0,1]
	v_pk_add_f32 v[42:43], v[42:43], v[46:47]
	v_mov_b32_e32 v49, v57
	v_pk_fma_f32 v[250:251], v[66:67], s[14:15], v[254:255] op_sel:[0,0,1] op_sel_hi:[1,0,0]
	v_pk_fma_f32 v[254:255], v[66:67], s[14:15], v[254:255] op_sel:[0,0,1] op_sel_hi:[1,0,0] neg_lo:[0,0,1] neg_hi:[0,0,1]
	v_mov_b32_e32 v66, v68
	v_mov_b32_e32 v67, v63
	v_pk_add_f32 v[42:43], v[48:49], v[42:43]
	v_mov_b32_e32 v55, v61
	v_mov_b32_e32 v248, v250
	;; [unrolled: 1-line block ×3, first 2 shown]
	v_pk_add_f32 v[44:45], v[66:67], v[44:45]
	v_pk_mul_f32 v[66:67], v[88:89], s[44:45] op_sel_hi:[1,0]
	v_pk_add_f32 v[42:43], v[54:55], v[42:43]
	v_mov_b32_e32 v59, v65
	v_pk_add_f32 v[238:239], v[248:249], v[238:239]
	v_pk_mul_f32 v[248:249], v[88:89], s[28:29] op_sel_hi:[1,0]
	v_pk_fma_f32 v[88:89], v[82:83], s[16:17], v[66:67] op_sel:[0,0,1] op_sel_hi:[1,0,0]
	v_pk_fma_f32 v[66:67], v[82:83], s[16:17], v[66:67] op_sel:[0,0,1] op_sel_hi:[1,0,0] neg_lo:[0,0,1] neg_hi:[0,0,1]
	v_pk_add_f32 v[42:43], v[58:59], v[42:43]
	v_mov_b32_e32 v63, v69
	v_mov_b32_e32 v170, v7
	;; [unrolled: 1-line block ×3, first 2 shown]
	v_pk_fma_f32 v[70:71], v[82:83], s[4:5], v[248:249] op_sel:[0,0,1] op_sel_hi:[1,0,0]
	v_pk_fma_f32 v[248:249], v[82:83], s[4:5], v[248:249] op_sel:[0,0,1] op_sel_hi:[1,0,0] neg_lo:[0,0,1] neg_hi:[0,0,1]
	v_mov_b32_e32 v82, v88
	v_mov_b32_e32 v83, v67
	v_pk_add_f32 v[42:43], v[62:63], v[42:43]
	v_mov_b32_e32 v67, v89
	v_pk_add_f32 v[44:45], v[82:83], v[44:45]
	v_pk_add_f32 v[42:43], v[66:67], v[42:43]
	v_mov_b32_e32 v97, v103
	ds_write2_b64 v4, v[44:45], v[42:43] offset0:8 offset1:9
	v_mov_b32_e32 v115, v117
	v_pk_add_f32 v[42:43], v[0:1], v[96:97]
	v_mov_b32_e32 v119, v121
	v_pk_add_f32 v[42:43], v[114:115], v[42:43]
	;; [unrolled: 2-line block ×8, first 2 shown]
	ds_write2_b64 v4, v[42:43], v[2:3] offset0:10 offset1:11
	v_mov_b32_e32 v223, v225
	v_pk_add_f32 v[42:43], v[0:1], v[218:219]
	v_mov_b32_e32 v229, v227
	v_pk_add_f32 v[42:43], v[222:223], v[42:43]
	;; [unrolled: 2-line block ×12, first 2 shown]
	v_mov_b32_e32 v213, v211
	v_mov_b32_e32 v247, v249
	v_pk_add_f32 v[8:9], v[254:255], v[8:9]
	v_mov_b32_e32 v249, v71
	v_pk_add_f32 v[42:43], v[212:213], v[42:43]
	;; [unrolled: 2-line block ×3, first 2 shown]
	v_pk_add_f32 v[42:43], v[216:217], v[42:43]
	v_mov_b32_e32 v139, v137
	ds_write2_b64 v4, v[8:9], v[42:43] offset0:12 offset1:13
	v_pk_add_f32 v[8:9], v[0:1], v[138:139]
	v_mov_b32_e32 v143, v141
	v_pk_add_f32 v[8:9], v[142:143], v[8:9]
	v_mov_b32_e32 v149, v147
	;; [unrolled: 2-line block ×6, first 2 shown]
	v_mov_b32_e32 v71, v7
	v_pk_add_f32 v[8:9], v[168:169], v[8:9]
	v_mov_b32_e32 v173, v171
	v_mov_b32_e32 v73, v13
	;; [unrolled: 1-line block ×4, first 2 shown]
	v_pk_add_f32 v[8:9], v[172:173], v[8:9]
	v_mov_b32_e32 v172, v12
	v_pk_add_f32 v[12:13], v[0:1], v[72:73]
	v_mov_b32_e32 v77, v75
	v_pk_add_f32 v[0:1], v[0:1], v[6:7]
	v_accvgpr_read_b32 v11, a1
	v_mov_b32_e32 v173, v15
	v_pk_add_f32 v[12:13], v[76:77], v[12:13]
	v_mov_b32_e32 v81, v79
	v_pk_add_f32 v[0:1], v[10:11], v[0:1]
	v_accvgpr_read_b32 v15, a3
	v_pk_add_f32 v[12:13], v[80:81], v[12:13]
	v_mov_b32_e32 v87, v85
	v_pk_add_f32 v[0:1], v[14:15], v[0:1]
	v_mov_b32_e32 v19, v17
	;; [unrolled: 2-line block ×8, first 2 shown]
	v_mov_b32_e32 v246, v70
	v_pk_add_f32 v[12:13], v[106:107], v[12:13]
	v_mov_b32_e32 v111, v109
	v_pk_add_f32 v[0:1], v[30:31], v[0:1]
	v_mov_b32_e32 v35, v33
	v_pk_add_f32 v[238:239], v[246:247], v[238:239]
	v_pk_add_f32 v[12:13], v[110:111], v[12:13]
	v_pk_add_f32 v[0:1], v[34:35], v[0:1]
	ds_write2_b64 v4, v[252:253], v[238:239] offset0:4 offset1:5
	ds_write2_b64 v4, v[8:9], v[12:13] offset0:14 offset1:15
	ds_write_b64 v4, v[0:1] offset:128
.LBB0_15:
	s_or_b64 exec, exec, s[2:3]
	s_movk_i32 s4, 0xf1
	v_mul_lo_u16_sdwa v0, v40, s4 dst_sel:DWORD dst_unused:UNUSED_PAD src0_sel:BYTE_0 src1_sel:DWORD
	v_lshrrev_b16_e32 v48, 12, v0
	v_mul_lo_u16_e32 v0, 17, v48
	v_sub_u16_e32 v49, v40, v0
	v_mov_b32_e32 v0, 10
	v_mul_u32_u24_sdwa v0, v49, v0 dst_sel:DWORD dst_unused:UNUSED_PAD src0_sel:BYTE_0 src1_sel:DWORD
	v_lshlrev_b32_e32 v0, 3, v0
	s_load_dwordx2 s[2:3], s[10:11], 0x0
	s_waitcnt lgkmcnt(0)
	s_barrier
	global_load_dwordx4 v[12:15], v0, s[8:9] offset:64
	global_load_dwordx4 v[4:7], v0, s[8:9]
	global_load_dwordx4 v[16:19], v0, s[8:9] offset:16
	global_load_dwordx4 v[20:23], v0, s[8:9] offset:32
	;; [unrolled: 1-line block ×3, first 2 shown]
	ds_read2_b64 v[8:11], v244 offset0:102 offset1:204
	ds_read2_b64 v[28:31], v242 offset0:50 offset1:152
	ds_read2_b32 v[46:47], v41 offset0:252 offset1:253
	ds_read2_b64 v[32:35], v71 offset0:48 offset1:150
	ds_read_b64 v[0:1], v243
	ds_read_b64 v[52:53], v244 offset:8160
	ds_read2_b64 v[42:45], v173 offset0:100 offset1:202
	s_movk_i32 s4, 0x5d8
	v_mov_b32_e32 v41, 3
	v_mad_u32_u24 v51, v48, s4, 0
	v_lshlrev_b32_sdwa v41, v41, v49 dst_sel:DWORD dst_unused:UNUSED_PAD src0_sel:DWORD src1_sel:BYTE_0
	s_waitcnt lgkmcnt(4)
	v_mov_b32_e32 v50, v47
	v_mov_b32_e32 v48, v11
	v_add3_u32 v41, v51, v41, v245
	s_waitcnt lgkmcnt(1)
	v_mov_b32_e32 v56, v53
	v_mov_b32_e32 v54, v35
	s_mov_b32 s4, 0x3f0a6770
	s_mov_b32 s5, 0x3f575c64
	;; [unrolled: 1-line block ×23, first 2 shown]
	s_waitcnt lgkmcnt(0)
	s_barrier
	s_waitcnt vmcnt(4)
	v_pk_mul_f32 v[60:61], v[52:53], v[14:15]
	v_pk_mul_f32 v[58:59], v[34:35], v[12:13]
	v_mov_b32_e32 v60, v15
	s_waitcnt vmcnt(3)
	v_mov_b32_e32 v62, v7
	v_mov_b32_e32 v63, v6
	v_pk_mul_f32 v[6:7], v[6:7], v[10:11] op_sel_hi:[1,0]
	s_waitcnt vmcnt(2)
	v_pk_mul_f32 v[64:65], v[16:17], v[28:29] op_sel:[0,1]
	v_pk_mul_f32 v[66:67], v[18:19], v[30:31] op_sel:[0,1]
	s_waitcnt vmcnt(1)
	v_pk_mul_f32 v[50:51], v[50:51], v[20:21] op_sel_hi:[0,1]
	v_mov_b32_e32 v68, v23
	s_waitcnt vmcnt(0)
	v_mov_b32_e32 v72, v27
	v_mov_b32_e32 v58, v13
	;; [unrolled: 1-line block ×4, first 2 shown]
	v_pk_mul_f32 v[60:61], v[52:53], v[60:61]
	v_pk_fma_f32 v[48:49], v[62:63], v[48:49], v[6:7]
	v_pk_fma_f32 v[6:7], v[62:63], v[10:11], v[6:7] op_sel:[0,1,0] neg_lo:[0,0,1] neg_hi:[0,0,1]
	v_pk_fma_f32 v[10:11], v[16:17], v[28:29], v[64:65] op_sel:[0,0,1] op_sel_hi:[1,0,0]
	v_pk_fma_f32 v[16:17], v[16:17], v[28:29], v[64:65] op_sel:[0,0,1] op_sel_hi:[1,0,0] neg_lo:[1,0,0] neg_hi:[1,0,0]
	v_pk_fma_f32 v[62:63], v[18:19], v[30:31], v[66:67] op_sel:[0,0,1] op_sel_hi:[1,0,0]
	v_pk_fma_f32 v[30:31], v[18:19], v[30:31], v[66:67] op_sel:[0,0,1] op_sel_hi:[1,0,0] neg_lo:[1,0,0] neg_hi:[1,0,0]
	;; [unrolled: 2-line block ×3, first 2 shown]
	v_pk_mul_f32 v[18:19], v[42:43], v[68:69] op_sel_hi:[1,0]
	v_pk_mul_f32 v[20:21], v[32:33], v[72:73] op_sel_hi:[1,0]
	v_pk_mul_f32 v[58:59], v[34:35], v[58:59]
	v_pk_fma_f32 v[50:51], v[34:35], v[12:13], v[74:75]
	v_pk_fma_f32 v[52:53], v[52:53], v[14:15], v[76:77]
	v_pk_fma_f32 v[14:15], v[56:57], v[14:15], v[60:61] neg_lo:[0,0,1] neg_hi:[0,0,1]
	v_mov_b32_e32 v49, v7
	v_pk_fma_f32 v[60:61], v[42:43], v[22:23], v[18:19] op_sel:[0,0,1] op_sel_hi:[1,0,0]
	v_pk_fma_f32 v[42:43], v[42:43], v[22:23], v[18:19] op_sel:[0,0,1] op_sel_hi:[1,0,0] neg_lo:[0,0,1] neg_hi:[0,0,1]
	v_pk_fma_f32 v[18:19], v[32:33], v[26:27], v[20:21] op_sel:[0,0,1] op_sel_hi:[1,0,0]
	v_pk_fma_f32 v[12:13], v[54:55], v[12:13], v[58:59] neg_lo:[0,0,1] neg_hi:[0,0,1]
	v_pk_fma_f32 v[22:23], v[32:33], v[26:27], v[20:21] op_sel:[0,0,1] op_sel_hi:[1,0,0] neg_lo:[0,0,1] neg_hi:[0,0,1]
	v_mov_b32_e32 v6, v7
	v_pk_add_f32 v[26:27], v[48:49], v[50:51]
	v_pk_add_f32 v[34:35], v[48:49], v[50:51] neg_lo:[0,1] neg_hi:[0,1]
	v_pk_add_f32 v[80:81], v[10:11], v[18:19] neg_lo:[0,1] neg_hi:[0,1]
	v_pk_mul_f32 v[70:71], v[44:45], v[24:25] op_sel:[0,1]
	v_pk_add_f32 v[32:33], v[6:7], v[12:13]
	v_pk_add_f32 v[74:75], v[6:7], v[12:13] neg_lo:[0,1] neg_hi:[0,1]
	v_mov_b32_e32 v27, v34
	v_pk_add_f32 v[82:83], v[16:17], v[22:23] op_sel:[1,1] neg_lo:[0,1] neg_hi:[0,1]
	v_pk_add_f32 v[28:29], v[16:17], v[22:23] op_sel:[1,1]
	v_mov_b32_e32 v81, v34
	v_pk_fma_f32 v[66:67], v[44:45], v[24:25], v[70:71] op_sel:[0,0,1] op_sel_hi:[1,0,0]
	v_pk_fma_f32 v[44:45], v[44:45], v[24:25], v[70:71] op_sel:[0,0,1] op_sel_hi:[1,0,0] neg_lo:[0,0,1] neg_hi:[0,0,1]
	v_mov_b32_e32 v54, v10
	v_pk_mul_f32 v[24:25], v[26:27], s[10:11]
	v_pk_add_f32 v[78:79], v[10:11], v[18:19]
	v_mov_b32_e32 v84, v29
	v_mov_b32_e32 v85, v32
	v_pk_mul_f32 v[10:11], v[80:81], s[22:23]
	v_mov_b32_e32 v87, v26
	v_mov_b32_e32 v26, v82
	;; [unrolled: 1-line block ×3, first 2 shown]
	s_mov_b32 s10, 0xbf0a6770
	v_mov_b32_e32 v55, v17
	v_mov_b32_e32 v51, v12
	v_pk_fma_f32 v[12:13], v[84:85], s[16:17], v[10:11]
	v_pk_fma_f32 v[16:17], v[84:85], s[16:17], v[10:11] neg_lo:[0,0,1] neg_hi:[0,0,1]
	v_mov_b32_e32 v86, v78
	v_pk_mul_f32 v[10:11], v[26:27], s[22:23]
	s_mov_b32 s11, 0x3f7d64f0
	v_mov_b32_e32 v72, v18
	v_mov_b32_e32 v53, v14
	;; [unrolled: 1-line block ×3, first 2 shown]
	v_pk_fma_f32 v[14:15], v[86:87], s[16:17], v[10:11] neg_lo:[0,0,1] neg_hi:[0,0,1]
	v_pk_fma_f32 v[18:19], v[86:87], s[16:17], v[10:11]
	v_pk_mul_f32 v[10:11], v[26:27], s[20:21]
	v_pk_mul_f32 v[32:33], v[26:27], s[14:15]
	;; [unrolled: 1-line block ×3, first 2 shown]
	v_mov_b32_e32 v56, v62
	v_mov_b32_e32 v73, v23
	;; [unrolled: 1-line block ×3, first 2 shown]
	v_pk_fma_f32 v[76:77], v[74:75], s[4:5], v[24:25] neg_lo:[1,0,0] neg_hi:[1,0,0]
	v_pk_fma_f32 v[74:75], v[86:87], s[18:19], v[10:11]
	v_pk_fma_f32 v[10:11], v[86:87], s[18:19], v[10:11] neg_lo:[0,0,1] neg_hi:[0,0,1]
	v_pk_mul_f32 v[22:23], v[84:85], s[18:19]
	v_pk_fma_f32 v[90:91], v[86:87], s[26:27], v[32:33]
	v_pk_fma_f32 v[32:33], v[86:87], s[26:27], v[32:33] neg_lo:[0,0,1] neg_hi:[0,0,1]
	v_pk_mul_f32 v[34:35], v[84:85], s[26:27]
	;; [unrolled: 3-line block ×3, first 2 shown]
	v_pk_add_f32 v[98:99], v[62:63], v[66:67]
	v_pk_add_f32 v[62:63], v[62:63], v[66:67] neg_lo:[0,1] neg_hi:[0,1]
	v_pk_add_f32 v[100:101], v[30:31], v[44:45]
	v_mov_b32_e32 v79, v80
	v_pk_fma_f32 v[88:89], v[80:81], s[20:21], v[22:23] neg_lo:[1,0,0] neg_hi:[1,0,0]
	v_pk_fma_f32 v[22:23], v[80:81], s[20:21], v[22:23]
	v_pk_fma_f32 v[92:93], v[80:81], s[14:15], v[34:35] neg_lo:[1,0,0] neg_hi:[1,0,0]
	v_pk_fma_f32 v[34:35], v[80:81], s[14:15], v[34:35]
	;; [unrolled: 2-line block ×3, first 2 shown]
	s_mov_b32 s20, s19
	v_mov_b32_e32 v26, v101
	v_mov_b32_e32 v27, v62
	v_mov_b32_e32 v57, v31
	v_mov_b32_e32 v68, v66
	v_pk_fma_f32 v[6:7], v[20:21], s[4:5], v[24:25]
	v_pk_add_f32 v[66:67], v[30:31], v[44:45] neg_lo:[0,1] neg_hi:[0,1]
	v_pk_mul_f32 v[30:31], v[26:27], s[20:21]
	v_mov_b32_e32 v77, v7
	v_mov_b32_e32 v7, v30
	v_pk_add_f32 v[110:111], v[64:65], v[60:61]
	v_mov_b32_e32 v58, v64
	v_mov_b32_e32 v71, v43
	v_pk_fma_f32 v[102:103], v[26:27], s[20:21], v[6:7] neg_lo:[1,0,0] neg_hi:[1,0,0]
	v_pk_add_f32 v[30:31], v[64:65], v[60:61] neg_lo:[0,1] neg_hi:[0,1]
	v_pk_add_f32 v[64:65], v[46:47], v[42:43] neg_lo:[0,1] neg_hi:[0,1]
	v_pk_add_f32 v[112:113], v[46:47], v[42:43]
	v_pk_mul_f32 v[42:43], v[110:111], s[18:19]
	v_mov_b32_e32 v99, v62
	v_mov_b32_e32 v43, v103
	v_pk_mul_f32 v[102:103], v[4:5], v[8:9] op_sel:[0,1]
	s_mov_b32 s15, s17
	v_pk_mul_f32 v[104:105], v[98:99], s[12:13]
	v_mov_b32_e32 v124, v113
	v_mov_b32_e32 v125, v101
	v_pk_fma_f32 v[156:157], v[4:5], v[8:9], v[102:103] op_sel:[0,0,1] op_sel_hi:[1,1,0]
	v_pk_fma_f32 v[4:5], v[4:5], v[8:9], v[102:103] op_sel:[0,0,1] op_sel_hi:[1,0,0] neg_lo:[1,0,0] neg_hi:[1,0,0]
	v_pk_fma_f32 v[106:107], v[66:67], s[14:15], v[104:105] op_sel:[1,0,0] neg_lo:[1,0,0] neg_hi:[1,0,0]
	v_mov_b32_e32 v66, v65
	s_mov_b32 s31, s11
	v_pk_mul_f32 v[126:127], v[124:125], s[28:29]
	v_mov_b32_e32 v128, v30
	v_mov_b32_e32 v129, v62
	;; [unrolled: 1-line block ×5, first 2 shown]
	v_pk_mul_f32 v[118:119], v[66:67], s[30:31]
	v_pk_mul_f32 v[62:63], v[128:129], s[30:31]
	v_pk_fma_f32 v[130:131], v[128:129], s[30:31], v[126:127] neg_lo:[1,0,0] neg_hi:[1,0,0]
	v_pk_fma_f32 v[132:133], v[128:129], s[30:31], v[126:127]
	s_mov_b32 s30, s21
	s_mov_b32 s31, s10
	v_pk_add_f32 v[102:103], v[156:157], v[52:53]
	v_pk_add_f32 v[158:159], v[156:157], v[52:53] neg_lo:[0,1] neg_hi:[0,1]
	v_pk_add_f32 v[156:157], v[156:157], v[0:1]
	s_mov_b32 s12, 0xbe903f40
	v_pk_fma_f32 v[120:121], v[114:115], s[28:29], v[118:119]
	v_pk_fma_f32 v[122:123], v[114:115], s[28:29], v[118:119] neg_lo:[0,0,1] neg_hi:[0,0,1]
	s_mov_b32 s28, s19
	s_mov_b32 s29, s5
	v_pk_mul_f32 v[134:135], v[66:67], s[30:31]
	v_pk_add_f32 v[48:49], v[156:157], v[48:49]
	v_pk_mul_f32 v[78:79], v[78:79], s[20:21]
	v_pk_fma_f32 v[26:27], v[26:27], s[20:21], v[6:7]
	s_mov_b32 s20, s12
	v_pk_fma_f32 v[136:137], v[114:115], s[28:29], v[134:135]
	v_pk_fma_f32 v[138:139], v[114:115], s[28:29], v[134:135] neg_lo:[0,0,1] neg_hi:[0,0,1]
	v_pk_mul_f32 v[140:141], v[124:125], s[28:29]
	s_mov_b32 s28, s14
	s_mov_b32 s29, s12
	v_pk_mul_f32 v[124:125], v[124:125], s[26:27]
	v_pk_add_f32 v[48:49], v[48:49], v[54:55]
	v_mov_b32_e32 v59, v47
	v_mov_b32_e32 v70, v60
	;; [unrolled: 1-line block ×5, first 2 shown]
	v_pk_mul_f32 v[46:47], v[66:67], s[20:21]
	v_pk_mul_f32 v[142:143], v[128:129], s[30:31]
	v_pk_fma_f32 v[144:145], v[128:129], s[30:31], v[140:141] neg_lo:[1,0,0] neg_hi:[1,0,0]
	v_pk_fma_f32 v[146:147], v[128:129], s[30:31], v[140:141]
	v_pk_mul_f32 v[66:67], v[66:67], s[28:29]
	v_pk_mul_f32 v[150:151], v[128:129], s[28:29]
	v_pk_fma_f32 v[152:153], v[128:129], s[28:29], v[124:125] neg_lo:[1,0,0] neg_hi:[1,0,0]
	v_pk_fma_f32 v[128:129], v[128:129], s[28:29], v[124:125]
	s_mov_b32 s28, s16
	s_mov_b32 s29, s22
	v_pk_add_f32 v[48:49], v[48:49], v[56:57]
	v_pk_mul_f32 v[60:61], v[60:61], s[28:29]
	s_mov_b32 s28, s23
	v_pk_add_f32 v[48:49], v[48:49], v[58:59]
	v_mov_b32_e32 v69, v45
	v_pk_mul_f32 v[4:5], v[158:159], s[28:29] op_sel:[1,0] op_sel_hi:[0,0]
	v_mov_b32_e32 v164, v102
	v_mov_b32_e32 v165, v158
	s_mov_b32 s28, s18
	s_mov_b32 s29, s12
	v_pk_add_f32 v[48:49], v[48:49], v[70:71]
	s_mov_b32 s13, s18
	s_mov_b32 s20, s17
	v_mov_b32_e32 v8, v159
	v_mov_b32_e32 v9, v103
	v_pk_mul_f32 v[164:165], v[164:165], s[28:29]
	v_pk_add_f32 v[48:49], v[48:49], v[68:69]
	v_mov_b32_e32 v31, v113
	v_pk_fma_f32 v[160:161], v[102:103], s[20:21], v[4:5] op_sel_hi:[1,0,1]
	v_pk_fma_f32 v[162:163], v[102:103], s[20:21], v[4:5] op_sel_hi:[1,0,1] neg_lo:[0,0,1] neg_hi:[0,0,1]
	v_pk_fma_f32 v[166:167], v[158:159], s[12:13], v[164:165] op_sel:[1,0,0] op_sel_hi:[0,1,1] neg_lo:[1,0,0] neg_hi:[1,0,0]
	v_pk_fma_f32 v[168:169], v[8:9], s[12:13], v[164:165]
	v_pk_add_f32 v[48:49], v[48:49], v[72:73]
	v_mov_b32_e32 v28, v82
	v_pk_mul_f32 v[44:45], v[30:31], s[12:13]
	v_mov_b32_e32 v4, v160
	v_mov_b32_e32 v5, v163
	v_mov_b32_e32 v167, v169
	v_pk_add_f32 v[48:49], v[48:49], v[50:51]
	v_pk_mul_f32 v[54:55], v[158:159], s[22:23] op_sel:[1,0] op_sel_hi:[0,0]
	v_pk_fma_f32 v[82:83], v[82:83], s[24:25], v[78:79] neg_lo:[1,0,0] neg_hi:[1,0,0]
	v_pk_fma_f32 v[96:97], v[28:29], s[24:25], v[78:79]
	v_mov_b32_e32 v7, v44
	v_pk_add_f32 v[4:5], v[4:5], v[0:1]
	v_pk_add_f32 v[166:167], v[166:167], v[0:1]
	;; [unrolled: 1-line block ×3, first 2 shown]
	v_mov_b32_e32 v52, v75
	v_mov_b32_e32 v53, v89
	v_pk_fma_f32 v[56:57], v[102:103], s[16:17], v[54:55] op_sel_hi:[1,0,1]
	v_pk_fma_f32 v[54:55], v[102:103], s[16:17], v[54:55] op_sel_hi:[1,0,1] neg_lo:[0,0,1] neg_hi:[0,0,1]
	v_mov_b32_e32 v83, v97
	v_pk_fma_f32 v[108:109], v[100:101], s[14:15], v[104:105]
	v_mov_b32_e32 v112, v65
	v_pk_fma_f32 v[98:99], v[114:115], s[18:19], v[46:47]
	v_pk_fma_f32 v[110:111], v[114:115], s[18:19], v[46:47] neg_lo:[0,0,1] neg_hi:[0,0,1]
	v_pk_fma_f32 v[116:117], v[30:31], s[12:13], v[6:7]
	v_pk_fma_f32 v[148:149], v[114:115], s[26:27], v[66:67]
	v_pk_fma_f32 v[114:115], v[114:115], s[26:27], v[66:67] neg_lo:[0,0,1] neg_hi:[0,0,1]
	s_mov_b32 s26, s22
	s_mov_b32 s27, s16
	v_pk_add_f32 v[50:51], v[76:77], v[166:167]
	v_pk_add_f32 v[4:5], v[52:53], v[4:5]
	v_mov_b32_e32 v75, v88
	v_mov_b32_e32 v7, v126
	v_mov_b32_e32 v119, v62
	v_mov_b32_e32 v58, v56
	v_mov_b32_e32 v59, v55
	v_mov_b32_e32 v107, v109
	v_pk_fma_f32 v[64:65], v[64:65], s[26:27], v[60:61] op_sel:[1,0,0] neg_lo:[1,0,0] neg_hi:[1,0,0]
	v_pk_fma_f32 v[154:155], v[112:113], s[26:27], v[60:61]
	v_pk_add_f32 v[4:5], v[74:75], v[4:5]
	v_pk_add_f32 v[50:51], v[82:83], v[50:51]
	v_mov_b32_e32 v130, v121
	v_pk_add_f32 v[52:53], v[6:7], v[118:119] neg_lo:[0,1] neg_hi:[0,1]
	v_pk_add_f32 v[58:59], v[58:59], v[0:1]
	v_mov_b32_e32 v62, v91
	v_mov_b32_e32 v63, v93
	;; [unrolled: 1-line block ×3, first 2 shown]
	v_pk_add_f32 v[50:51], v[106:107], v[50:51]
	v_pk_add_f32 v[4:5], v[130:131], v[4:5]
	v_mov_b32_e32 v121, v53
	v_mov_b32_e32 v7, v140
	;; [unrolled: 1-line block ×3, first 2 shown]
	v_pk_add_f32 v[58:59], v[62:63], v[58:59]
	v_mov_b32_e32 v91, v92
	v_pk_add_f32 v[52:53], v[120:121], v[4:5]
	v_pk_add_f32 v[4:5], v[64:65], v[50:51]
	v_pk_add_f32 v[50:51], v[6:7], v[134:135] neg_lo:[0,1] neg_hi:[0,1]
	v_pk_add_f32 v[58:59], v[90:91], v[58:59]
	v_mov_b32_e32 v144, v137
	v_mov_b32_e32 v50, v136
	v_pk_add_f32 v[58:59], v[144:145], v[58:59]
	s_mov_b32 s18, s21
	v_pk_add_f32 v[50:51], v[50:51], v[58:59]
	ds_write2_b64 v41, v[52:53], v[50:51] offset0:34 offset1:51
	s_mov_b32 s16, s19
	v_pk_mul_f32 v[52:53], v[158:159], s[18:19] op_sel:[1,0] op_sel_hi:[0,0]
	v_pk_fma_f32 v[58:59], v[102:103], s[16:17], v[52:53] op_sel_hi:[1,0,1]
	v_pk_fma_f32 v[52:53], v[102:103], s[16:17], v[52:53] op_sel_hi:[1,0,1] neg_lo:[0,0,1] neg_hi:[0,0,1]
	v_pk_fma_f32 v[8:9], v[8:9], s[12:13], v[164:165] neg_lo:[0,0,1] neg_hi:[0,0,1]
	v_mov_b32_e32 v7, v124
	v_mov_b32_e32 v67, v150
	;; [unrolled: 1-line block ×4, first 2 shown]
	v_pk_fma_f32 v[20:21], v[20:21], s[4:5], v[24:25] neg_lo:[0,0,1] neg_hi:[0,0,1]
	v_mov_b32_e32 v169, v9
	v_pk_add_f32 v[50:51], v[6:7], v[66:67] neg_lo:[0,1] neg_hi:[0,1]
	v_pk_add_f32 v[62:63], v[62:63], v[0:1]
	v_mov_b32_e32 v64, v95
	v_mov_b32_e32 v65, v85
	;; [unrolled: 1-line block ×3, first 2 shown]
	v_pk_fma_f32 v[20:21], v[28:29], s[24:25], v[78:79] neg_lo:[0,0,1] neg_hi:[0,0,1]
	v_pk_add_f32 v[8:9], v[168:169], v[0:1]
	v_pk_add_f32 v[62:63], v[64:65], v[62:63]
	v_mov_b32_e32 v95, v84
	v_mov_b32_e32 v97, v21
	v_pk_fma_f32 v[20:21], v[100:101], s[14:15], v[104:105] neg_lo:[0,0,1] neg_hi:[0,0,1]
	v_pk_add_f32 v[6:7], v[6:7], v[8:9]
	v_pk_add_f32 v[62:63], v[94:95], v[62:63]
	v_mov_b32_e32 v152, v149
	v_mov_b32_e32 v109, v21
	v_pk_fma_f32 v[20:21], v[112:113], s[26:27], v[60:61] neg_lo:[0,0,1] neg_hi:[0,0,1]
	v_pk_add_f32 v[6:7], v[96:97], v[6:7]
	v_mov_b32_e32 v50, v148
	v_pk_add_f32 v[62:63], v[152:153], v[62:63]
	v_mov_b32_e32 v155, v21
	v_pk_add_f32 v[6:7], v[108:109], v[6:7]
	v_pk_add_f32 v[50:51], v[50:51], v[62:63]
	;; [unrolled: 1-line block ×3, first 2 shown]
	v_mov_b32_e32 v53, v59
	ds_write2_b64 v41, v[50:51], v[6:7] offset0:68 offset1:85
	v_pk_add_f32 v[6:7], v[52:53], v[0:1]
	v_mov_b32_e32 v8, v87
	v_mov_b32_e32 v9, v81
	v_pk_add_f32 v[6:7], v[8:9], v[6:7]
	v_mov_b32_e32 v87, v80
	v_pk_add_f32 v[6:7], v[86:87], v[6:7]
	v_mov_b32_e32 v8, v115
	v_mov_b32_e32 v9, v129
	;; [unrolled: 1-line block ×3, first 2 shown]
	v_pk_add_f32 v[6:7], v[8:9], v[6:7]
	v_pk_add_f32 v[8:9], v[54:55], v[0:1]
	v_mov_b32_e32 v20, v33
	v_mov_b32_e32 v21, v35
	v_pk_add_f32 v[8:9], v[20:21], v[8:9]
	v_mov_b32_e32 v33, v34
	v_pk_add_f32 v[8:9], v[32:33], v[8:9]
	v_mov_b32_e32 v20, v139
	v_mov_b32_e32 v21, v147
	v_mov_b32_e32 v163, v161
	v_pk_add_f32 v[8:9], v[20:21], v[8:9]
	v_pk_add_f32 v[20:21], v[162:163], v[0:1]
	v_mov_b32_e32 v24, v11
	v_mov_b32_e32 v25, v23
	v_pk_add_f32 v[20:21], v[24:25], v[20:21]
	v_mov_b32_e32 v11, v22
	v_pk_add_f32 v[10:11], v[10:11], v[20:21]
	v_mov_b32_e32 v20, v123
	v_mov_b32_e32 v21, v133
	v_pk_add_f32 v[10:11], v[20:21], v[10:11]
	s_mov_b32 s4, s5
	v_pk_mul_f32 v[20:21], v[158:159], s[10:11] op_sel:[1,0] op_sel_hi:[0,0]
	v_pk_fma_f32 v[22:23], v[102:103], s[4:5], v[20:21] op_sel_hi:[1,0,1]
	v_pk_fma_f32 v[20:21], v[102:103], s[4:5], v[20:21] op_sel_hi:[1,0,1] neg_lo:[0,0,1] neg_hi:[0,0,1]
	v_mov_b32_e32 v25, v23
	v_mov_b32_e32 v24, v20
	v_pk_add_f32 v[20:21], v[20:21], v[0:1]
	v_pk_add_f32 v[22:23], v[22:23], v[0:1]
	;; [unrolled: 1-line block ×3, first 2 shown]
	v_mov_b32_e32 v17, v16
	v_pk_add_f32 v[16:17], v[16:17], v[20:21]
	v_pk_add_f32 v[0:1], v[24:25], v[0:1]
	v_mov_b32_e32 v16, v19
	v_pk_add_f32 v[20:21], v[16:17], v[22:23]
	v_mov_b32_e32 v22, v15
	v_mov_b32_e32 v23, v13
	v_pk_add_f32 v[18:19], v[18:19], v[20:21]
	v_mov_b32_e32 v98, v99
	v_pk_add_f32 v[0:1], v[22:23], v[0:1]
	v_mov_b32_e32 v15, v12
	v_mov_b32_e32 v12, v18
	;; [unrolled: 1-line block ×3, first 2 shown]
	v_pk_add_f32 v[0:1], v[14:15], v[0:1]
	v_pk_add_f32 v[14:15], v[98:99], v[18:19]
	v_pk_fma_f32 v[12:13], v[30:31], s[12:13], v[12:13] neg_lo:[0,0,1] neg_hi:[0,0,1]
	v_mov_b32_e32 v47, v17
	v_mov_b32_e32 v115, v128
	v_mov_b32_e32 v139, v146
	v_mov_b32_e32 v123, v132
	v_mov_b32_e32 v26, v111
	v_mov_b32_e32 v15, v13
	v_pk_add_f32 v[12:13], v[42:43], v[46:47]
	v_pk_add_f32 v[6:7], v[114:115], v[6:7]
	;; [unrolled: 1-line block ×5, first 2 shown]
	v_mov_b32_e32 v111, v117
	v_pk_add_f32 v[12:13], v[12:13], v[14:15]
	ds_write2_b64 v41, v[4:5], v[6:7] offset0:102 offset1:119
	ds_write2_b64 v41, v[8:9], v[10:11] offset0:136 offset1:153
	v_pk_add_f32 v[0:1], v[110:111], v[0:1]
	ds_write2_b64 v41, v[48:49], v[12:13] offset1:17
	ds_write_b64 v41, v[0:1] offset:1360
	s_waitcnt lgkmcnt(0)
	s_barrier
	ds_read2_b64 v[16:19], v172 offset0:59 offset1:246
	ds_read2_b64 v[12:15], v173 offset0:49 offset1:236
	ds_read_b64 v[20:21], v243
	ds_read_b64 v[22:23], v244 offset:7480
	s_movk_i32 s4, 0x55
	v_cmp_gt_u32_e32 vcc, s4, v40
	s_and_saveexec_b64 s[4:5], vcc
	s_cbranch_execz .LBB0_17
; %bb.16:
	v_add_u32_e32 v0, 0x200, v244
	ds_read2_b64 v[4:7], v0 offset0:38 offset1:225
	v_add_u32_e32 v0, 0xe00, v244
	ds_read2_b64 v[8:11], v0 offset0:28 offset1:215
	;; [unrolled: 2-line block ×3, first 2 shown]
.LBB0_17:
	s_or_b64 exec, exec, s[4:5]
	v_mul_u32_u24_e32 v24, 5, v40
	v_lshlrev_b32_e32 v34, 3, v24
	global_load_dwordx4 v[24:27], v34, s[8:9] offset:1360
	global_load_dwordx4 v[28:31], v34, s[8:9] offset:1376
	global_load_dwordx2 v[32:33], v34, s[8:9] offset:1392
	s_mov_b32 s10, 0.5
	s_mov_b32 s11, 0x3f5db3d7
	s_mov_b32 s14, s11
	;; [unrolled: 1-line block ×4, first 2 shown]
	s_mov_b32 s4, -0.5
	s_mov_b32 s5, s11
	v_add_u32_e32 v41, 0xa00, v244
	v_add_u32_e32 v52, 0x1600, v244
	s_waitcnt lgkmcnt(0)
	s_barrier
	s_waitcnt vmcnt(2)
	v_pk_mul_f32 v[34:35], v[24:25], v[16:17] op_sel:[0,1]
	v_pk_mul_f32 v[42:43], v[26:27], v[18:19] op_sel:[0,1]
	s_waitcnt vmcnt(1)
	v_pk_mul_f32 v[44:45], v[28:29], v[12:13] op_sel:[0,1]
	v_pk_mul_f32 v[46:47], v[30:31], v[14:15] op_sel:[0,1]
	s_waitcnt vmcnt(0)
	v_pk_mul_f32 v[48:49], v[32:33], v[22:23] op_sel:[0,1]
	v_pk_fma_f32 v[50:51], v[24:25], v[16:17], v[34:35] op_sel:[0,0,1] op_sel_hi:[1,0,0]
	v_pk_fma_f32 v[16:17], v[24:25], v[16:17], v[34:35] op_sel:[0,0,1] op_sel_hi:[1,0,0] neg_lo:[1,0,0] neg_hi:[1,0,0]
	v_pk_fma_f32 v[24:25], v[26:27], v[18:19], v[42:43] op_sel:[0,0,1] op_sel_hi:[1,1,0]
	v_pk_fma_f32 v[18:19], v[26:27], v[18:19], v[42:43] op_sel:[0,0,1] op_sel_hi:[1,0,0] neg_lo:[1,0,0] neg_hi:[1,0,0]
	;; [unrolled: 2-line block ×5, first 2 shown]
	v_mov_b32_e32 v27, v13
	v_mov_b32_e32 v31, v23
	;; [unrolled: 1-line block ×4, first 2 shown]
	v_pk_add_f32 v[18:19], v[26:27], v[30:31]
	v_mov_b32_e32 v51, v17
	v_mov_b32_e32 v12, v50
	v_pk_add_f32 v[14:15], v[20:21], v[24:25]
	v_pk_add_f32 v[22:23], v[26:27], v[30:31] neg_lo:[0,1] neg_hi:[0,1]
	v_pk_add_f32 v[32:33], v[24:25], v[28:29]
	v_pk_add_f32 v[24:25], v[24:25], v[28:29] neg_lo:[0,1] neg_hi:[0,1]
	v_fmac_f32_e32 v17, -0.5, v19
	v_pk_add_f32 v[26:27], v[50:51], v[26:27]
	v_fmac_f32_e32 v12, -0.5, v18
	v_pk_fma_f32 v[18:19], -0.5, v[32:33], v[20:21] op_sel_hi:[0,1,1]
	v_pk_mul_f32 v[20:21], v[24:25], s[14:15] op_sel_hi:[1,0]
	v_fmamk_f32 v24, v22, 0x3f5db3d7, v17
	v_pk_add_f32 v[14:15], v[14:15], v[28:29]
	v_pk_add_f32 v[26:27], v[26:27], v[30:31]
	v_fmamk_f32 v16, v23, 0xbf5db3d7, v12
	v_fmac_f32_e32 v17, 0xbf5db3d7, v22
	v_pk_add_f32 v[28:29], v[18:19], v[20:21] op_sel:[0,1] op_sel_hi:[1,0] neg_lo:[0,1] neg_hi:[0,1]
	v_pk_add_f32 v[18:19], v[18:19], v[20:21] op_sel:[0,1] op_sel_hi:[1,0]
	v_pk_mul_f32 v[24:25], v[24:25], s[12:13] op_sel_hi:[0,1]
	v_fmac_f32_e32 v12, 0x3f5db3d7, v23
	v_pk_add_f32 v[22:23], v[14:15], v[26:27]
	v_pk_add_f32 v[14:15], v[14:15], v[26:27] neg_lo:[0,1] neg_hi:[0,1]
	v_mov_b32_e32 v20, v28
	v_mov_b32_e32 v21, v19
	v_mov_b32_e32 v26, v17
	v_mov_b32_e32 v19, v29
	v_pk_fma_f32 v[28:29], v[16:17], s[10:11], v[24:25] neg_lo:[0,0,1] neg_hi:[0,0,1]
	v_pk_fma_f32 v[16:17], v[16:17], s[10:11], v[24:25] op_sel_hi:[0,1,1]
	v_pk_mul_f32 v[24:25], v[26:27], s[12:13] op_sel_hi:[0,1]
	v_mov_b32_e32 v29, v17
	v_pk_fma_f32 v[12:13], v[12:13], s[4:5], v[24:25] op_sel_hi:[0,1,1] neg_lo:[0,0,1] neg_hi:[0,0,1]
	v_pk_add_f32 v[16:17], v[20:21], v[28:29]
	v_pk_add_f32 v[24:25], v[18:19], v[12:13]
	v_pk_add_f32 v[20:21], v[20:21], v[28:29] neg_lo:[0,1] neg_hi:[0,1]
	v_pk_add_f32 v[12:13], v[18:19], v[12:13] neg_lo:[0,1] neg_hi:[0,1]
	ds_write2_b64 v244, v[22:23], v[16:17] offset1:187
	ds_write2_b64 v41, v[24:25], v[14:15] offset0:54 offset1:241
	ds_write2_b64 v52, v[20:21], v[12:13] offset0:44 offset1:231
	s_and_saveexec_b64 s[14:15], vcc
	s_cbranch_execz .LBB0_19
; %bb.18:
	v_add_u32_e32 v12, 0x66, v40
	v_add_u32_e32 v13, 0xffffffab, v40
	v_cndmask_b32_e32 v12, v13, v12, vcc
	v_mul_i32_i24_e32 v12, 5, v12
	v_mov_b32_e32 v13, 0
	v_lshl_add_u64 v[20:21], v[12:13], 3, s[8:9]
	global_load_dwordx4 v[12:15], v[20:21], off offset:1360
	global_load_dwordx4 v[16:19], v[20:21], off offset:1376
	global_load_dwordx2 v[22:23], v[20:21], off offset:1392
	v_mov_b32_e32 v20, v9
	v_mov_b32_e32 v24, v1
	;; [unrolled: 1-line block ×4, first 2 shown]
	s_mov_b32 s16, s11
	v_add_u32_e32 v34, 0x200, v244
	v_add_u32_e32 v35, 0xe00, v244
	;; [unrolled: 1-line block ×3, first 2 shown]
	s_waitcnt vmcnt(2)
	v_pk_mul_f32 v[20:21], v[20:21], v[14:15] op_sel_hi:[0,1]
	s_waitcnt vmcnt(1)
	v_pk_mul_f32 v[24:25], v[24:25], v[18:19] op_sel_hi:[0,1]
	v_pk_mul_f32 v[28:29], v[28:29], v[16:17] op_sel_hi:[0,1]
	s_waitcnt vmcnt(0)
	v_pk_mul_f32 v[30:31], v[2:3], v[22:23] op_sel:[1,0]
	v_pk_mul_f32 v[26:27], v[26:27], v[12:13] op_sel_hi:[0,1]
	v_pk_fma_f32 v[32:33], v[8:9], v[14:15], v[20:21] op_sel:[0,0,1] op_sel_hi:[1,1,0]
	v_pk_fma_f32 v[8:9], v[8:9], v[14:15], v[20:21] op_sel:[0,0,1] op_sel_hi:[0,1,0] neg_lo:[1,0,0] neg_hi:[1,0,0]
	v_pk_fma_f32 v[14:15], v[0:1], v[18:19], v[24:25] op_sel:[0,0,1] op_sel_hi:[1,1,0]
	v_pk_fma_f32 v[0:1], v[0:1], v[18:19], v[24:25] op_sel:[0,0,1] op_sel_hi:[0,1,0] neg_lo:[1,0,0] neg_hi:[1,0,0]
	;; [unrolled: 2-line block ×5, first 2 shown]
	v_mov_b32_e32 v19, v11
	v_mov_b32_e32 v17, v3
	;; [unrolled: 1-line block ×5, first 2 shown]
	v_pk_add_f32 v[2:3], v[18:19], v[16:17]
	v_mov_b32_e32 v0, v20
	v_pk_add_f32 v[8:9], v[18:19], v[16:17] neg_lo:[0,1] neg_hi:[0,1]
	v_pk_add_f32 v[10:11], v[4:5], v[32:33]
	v_pk_add_f32 v[12:13], v[20:21], v[18:19]
	v_pk_add_f32 v[18:19], v[32:33], v[14:15]
	v_pk_add_f32 v[20:21], v[32:33], v[14:15] neg_lo:[0,1] neg_hi:[0,1]
	v_fmac_f32_e32 v7, -0.5, v3
	v_fmac_f32_e32 v0, -0.5, v2
	v_pk_add_f32 v[2:3], v[10:11], v[14:15]
	v_pk_add_f32 v[10:11], v[12:13], v[16:17]
	v_pk_fma_f32 v[4:5], -0.5, v[18:19], v[4:5] op_sel_hi:[0,1,1]
	v_pk_mul_f32 v[12:13], v[20:21], s[16:17] op_sel_hi:[1,0]
	v_fmamk_f32 v14, v8, 0xbf5db3d7, v7
	v_fmac_f32_e32 v7, 0x3f5db3d7, v8
	v_pk_add_f32 v[16:17], v[4:5], v[12:13] op_sel:[0,1] op_sel_hi:[1,0] neg_lo:[0,1] neg_hi:[0,1]
	v_pk_add_f32 v[4:5], v[4:5], v[12:13] op_sel:[0,1] op_sel_hi:[1,0]
	v_mov_b32_e32 v12, v7
	v_fmamk_f32 v6, v9, 0x3f5db3d7, v0
	v_fmac_f32_e32 v0, 0xbf5db3d7, v9
	v_pk_mul_f32 v[14:15], v[14:15], s[12:13] op_sel_hi:[0,1]
	v_pk_mul_f32 v[12:13], v[12:13], s[12:13] op_sel_hi:[0,1]
	v_pk_fma_f32 v[6:7], v[6:7], s[4:5], v[14:15] op_sel_hi:[0,1,1] neg_lo:[0,0,1] neg_hi:[0,0,1]
	v_pk_fma_f32 v[14:15], v[0:1], s[10:11], v[12:13] neg_lo:[0,0,1] neg_hi:[0,0,1]
	v_pk_fma_f32 v[0:1], v[0:1], s[10:11], v[12:13] op_sel_hi:[0,1,1]
	v_pk_add_f32 v[8:9], v[2:3], v[10:11]
	v_pk_add_f32 v[2:3], v[2:3], v[10:11] neg_lo:[0,1] neg_hi:[0,1]
	v_mov_b32_e32 v10, v16
	v_mov_b32_e32 v11, v5
	v_mov_b32_e32 v5, v17
	v_mov_b32_e32 v15, v1
	v_pk_add_f32 v[12:13], v[4:5], v[6:7]
	v_pk_add_f32 v[0:1], v[10:11], v[14:15]
	v_pk_add_f32 v[4:5], v[4:5], v[6:7] neg_lo:[0,1] neg_hi:[0,1]
	ds_write2_b64 v35, v[12:13], v[2:3] offset0:28 offset1:215
	v_pk_add_f32 v[2:3], v[10:11], v[14:15] neg_lo:[0,1] neg_hi:[0,1]
	ds_write2_b64 v34, v[8:9], v[0:1] offset0:38 offset1:225
	ds_write2_b64 v41, v[2:3], v[4:5] offset0:18 offset1:205
.LBB0_19:
	s_or_b64 exec, exec, s[14:15]
	s_waitcnt lgkmcnt(0)
	s_barrier
	ds_read_b64 v[0:1], v243
	s_add_u32 s4, s8, 0x2288
	s_addc_u32 s5, s9, 0
	v_sub_u32_e32 v6, v170, v171
	v_cmp_ne_u32_e32 vcc, 0, v40
                                        ; implicit-def: $vgpr3
                                        ; implicit-def: $vgpr7
                                        ; implicit-def: $vgpr4_vgpr5
	s_and_saveexec_b64 s[8:9], vcc
	s_xor_b64 s[8:9], exec, s[8:9]
	s_cbranch_execz .LBB0_21
; %bb.20:
	v_mov_b32_e32 v41, 0
	v_lshl_add_u64 v[2:3], v[40:41], 3, s[4:5]
	global_load_dwordx2 v[2:3], v[2:3], off
	ds_read_b64 v[4:5], v6 offset:8976
	s_waitcnt lgkmcnt(0)
	v_pk_add_f32 v[8:9], v[4:5], v[0:1]
	v_pk_add_f32 v[0:1], v[0:1], v[4:5] neg_lo:[0,1] neg_hi:[0,1]
	v_pk_mul_f32 v[4:5], v[8:9], 0.5 op_sel_hi:[1,0]
	v_mul_f32_e32 v7, 0.5, v0
	v_mul_f32_e32 v11, 0.5, v1
	s_waitcnt vmcnt(0)
	v_mul_f32_e32 v0, v3, v7
	v_mov_b32_e32 v1, v2
	v_fma_f32 v10, v3, v7, v4
	v_fma_f32 v12, v5, v3, v11
	v_fma_f32 v3, v5, v3, -v11
	v_pk_mul_f32 v[4:5], v[4:5], v[0:1]
	v_pk_fma_f32 v[0:1], v[8:9], 0.5, v[0:1] op_sel_hi:[1,0,1] neg_lo:[0,0,1] neg_hi:[0,0,1]
	v_fma_f32 v4, -v2, v7, v12
	v_fma_f32 v2, -v2, v7, v3
	v_mov_b32_e32 v1, v0
	v_mov_b32_e32 v11, v5
	ds_write_b32 v243, v4 offset:4
	ds_write_b32 v6, v2 offset:8980
	v_add_f32_e32 v7, v5, v10
	v_pk_add_f32 v[2:3], v[0:1], v[10:11] neg_lo:[0,1] neg_hi:[0,1]
	v_mov_b64_e32 v[4:5], v[40:41]
                                        ; implicit-def: $vgpr0_vgpr1
.LBB0_21:
	s_andn2_saveexec_b64 s[8:9], s[8:9]
	s_cbranch_execz .LBB0_23
; %bb.22:
	v_mov_b32_e32 v2, 0
	ds_write_b32 v243, v2 offset:4
	ds_write_b32 v6, v2 offset:8980
	ds_read_b32 v4, v170 offset:4492
	s_waitcnt lgkmcnt(3)
	v_pk_add_f32 v[2:3], v[0:1], v[0:1] op_sel:[0,1] op_sel_hi:[0,1] neg_lo:[0,1] neg_hi:[0,1]
	v_add_f32_e32 v7, v0, v1
	s_waitcnt lgkmcnt(0)
	v_xor_b32_e32 v0, 0x80000000, v4
	v_mov_b64_e32 v[4:5], 0
	ds_write_b32 v170, v0 offset:4492
.LBB0_23:
	s_or_b64 exec, exec, s[8:9]
	s_waitcnt lgkmcnt(0)
	v_lshl_add_u64 v[0:1], v[4:5], 3, s[4:5]
	global_load_dwordx2 v[4:5], v[0:1], off offset:816
	global_load_dwordx2 v[8:9], v[0:1], off offset:1632
	;; [unrolled: 1-line block ×4, first 2 shown]
	ds_write_b32 v243, v7
	ds_write_b32 v6, v3 offset:8976
	ds_read_b64 v[14:15], v243 offset:816
	ds_read_b64 v[16:17], v6 offset:8160
	v_mov_b32_e32 v3, 0.5
	v_mov_b32_e32 v18, v3
	v_cmp_gt_u32_e32 vcc, 51, v40
	s_waitcnt lgkmcnt(0)
	v_pk_add_f32 v[20:21], v[14:15], v[16:17]
	v_pk_add_f32 v[14:15], v[14:15], v[16:17] neg_lo:[0,1] neg_hi:[0,1]
	v_mov_b32_e32 v16, v21
	v_mov_b32_e32 v17, v14
	v_pk_mul_f32 v[16:17], v[16:17], 0.5 op_sel_hi:[1,0]
	s_waitcnt vmcnt(3)
	v_mov_b32_e32 v2, v5
	v_mov_b32_e32 v14, v17
	;; [unrolled: 1-line block ×4, first 2 shown]
	v_pk_mul_f32 v[14:15], v[2:3], v[14:15]
	s_waitcnt vmcnt(2)
	v_mov_b32_e32 v2, v9
	v_pk_fma_f32 v[22:23], v[20:21], v[18:19], v[14:15]
	v_pk_fma_f32 v[14:15], v[20:21], v[18:19], v[14:15] neg_lo:[0,0,1] neg_hi:[0,0,1]
	v_pk_fma_f32 v[18:19], v[4:5], v[16:17], v[22:23]
	v_pk_fma_f32 v[20:21], v[4:5], v[16:17], v[22:23] op_sel_hi:[0,1,1] neg_lo:[1,0,0] neg_hi:[1,0,0]
	v_mov_b32_e32 v19, v21
	v_pk_fma_f32 v[4:5], v[4:5], v[16:17], v[14:15] op_sel_hi:[0,1,1] neg_lo:[1,0,0] neg_hi:[1,0,0]
	ds_write_b64 v243, v[18:19] offset:816
	ds_write_b64 v6, v[4:5] offset:8160
	ds_read_b64 v[4:5], v243 offset:1632
	ds_read_b64 v[14:15], v6 offset:7344
	v_mov_b32_e32 v16, v3
	v_mov_b32_e32 v17, v9
	s_waitcnt lgkmcnt(0)
	v_pk_add_f32 v[18:19], v[4:5], v[14:15]
	v_pk_add_f32 v[4:5], v[4:5], v[14:15] neg_lo:[0,1] neg_hi:[0,1]
	v_mov_b32_e32 v14, v19
	v_mov_b32_e32 v15, v4
	v_pk_mul_f32 v[14:15], v[14:15], 0.5 op_sel_hi:[1,0]
	s_nop 0
	v_mov_b32_e32 v4, v15
	v_mov_b32_e32 v19, v14
	v_pk_mul_f32 v[4:5], v[2:3], v[4:5]
	s_waitcnt vmcnt(1)
	v_mov_b32_e32 v2, v11
	v_pk_fma_f32 v[20:21], v[18:19], v[16:17], v[4:5]
	v_pk_fma_f32 v[4:5], v[18:19], v[16:17], v[4:5] neg_lo:[0,0,1] neg_hi:[0,0,1]
	v_pk_fma_f32 v[16:17], v[8:9], v[14:15], v[20:21]
	v_pk_fma_f32 v[18:19], v[8:9], v[14:15], v[20:21] op_sel_hi:[0,1,1] neg_lo:[1,0,0] neg_hi:[1,0,0]
	v_mov_b32_e32 v17, v19
	v_pk_fma_f32 v[4:5], v[8:9], v[14:15], v[4:5] op_sel_hi:[0,1,1] neg_lo:[1,0,0] neg_hi:[1,0,0]
	ds_write_b64 v243, v[16:17] offset:1632
	ds_write_b64 v6, v[4:5] offset:7344
	ds_read_b64 v[4:5], v243 offset:2448
	ds_read_b64 v[8:9], v6 offset:6528
	v_mov_b32_e32 v14, v3
	v_mov_b32_e32 v15, v11
	s_waitcnt lgkmcnt(0)
	v_pk_add_f32 v[16:17], v[4:5], v[8:9]
	v_pk_add_f32 v[4:5], v[4:5], v[8:9] neg_lo:[0,1] neg_hi:[0,1]
	v_mov_b32_e32 v8, v17
	v_mov_b32_e32 v9, v4
	v_pk_mul_f32 v[8:9], v[8:9], 0.5 op_sel_hi:[1,0]
	s_nop 0
	v_mov_b32_e32 v4, v9
	v_mov_b32_e32 v17, v8
	;; [unrolled: 24-line block ×3, first 2 shown]
	v_pk_mul_f32 v[4:5], v[2:3], v[4:5]
	s_nop 0
	v_pk_fma_f32 v[16:17], v[14:15], v[10:11], v[4:5]
	v_pk_fma_f32 v[4:5], v[14:15], v[10:11], v[4:5] neg_lo:[0,0,1] neg_hi:[0,0,1]
	v_pk_fma_f32 v[10:11], v[12:13], v[8:9], v[16:17]
	v_pk_fma_f32 v[14:15], v[12:13], v[8:9], v[16:17] op_sel_hi:[0,1,1] neg_lo:[1,0,0] neg_hi:[1,0,0]
	v_mov_b32_e32 v11, v15
	v_pk_fma_f32 v[4:5], v[12:13], v[8:9], v[4:5] op_sel_hi:[0,1,1] neg_lo:[1,0,0] neg_hi:[1,0,0]
	ds_write_b64 v243, v[10:11] offset:3264
	ds_write_b64 v6, v[4:5] offset:5712
	s_and_saveexec_b64 s[4:5], vcc
	s_cbranch_execz .LBB0_25
; %bb.24:
	global_load_dwordx2 v[0:1], v[0:1], off offset:4080
	ds_read_b64 v[4:5], v243 offset:4080
	ds_read_b64 v[8:9], v6 offset:4896
	v_mov_b32_e32 v10, v3
	s_waitcnt lgkmcnt(0)
	v_pk_add_f32 v[12:13], v[4:5], v[8:9]
	v_pk_add_f32 v[4:5], v[4:5], v[8:9] neg_lo:[0,1] neg_hi:[0,1]
	v_mov_b32_e32 v8, v13
	v_mov_b32_e32 v9, v4
	v_pk_mul_f32 v[8:9], v[8:9], 0.5 op_sel_hi:[1,0]
	s_waitcnt vmcnt(0)
	v_mov_b32_e32 v2, v1
	v_mov_b32_e32 v4, v9
	;; [unrolled: 1-line block ×4, first 2 shown]
	v_pk_mul_f32 v[2:3], v[2:3], v[4:5]
	s_nop 0
	v_pk_fma_f32 v[4:5], v[12:13], v[10:11], v[2:3]
	v_pk_fma_f32 v[2:3], v[12:13], v[10:11], v[2:3] neg_lo:[0,0,1] neg_hi:[0,0,1]
	v_pk_fma_f32 v[10:11], v[0:1], v[8:9], v[4:5]
	v_pk_fma_f32 v[4:5], v[0:1], v[8:9], v[4:5] op_sel_hi:[0,1,1] neg_lo:[1,0,0] neg_hi:[1,0,0]
	v_mov_b32_e32 v11, v5
	v_pk_fma_f32 v[0:1], v[0:1], v[8:9], v[2:3] op_sel_hi:[0,1,1] neg_lo:[1,0,0] neg_hi:[1,0,0]
	ds_write_b64 v243, v[10:11] offset:4080
	ds_write_b64 v6, v[0:1] offset:4896
.LBB0_25:
	s_or_b64 exec, exec, s[4:5]
	s_waitcnt lgkmcnt(0)
	s_barrier
	s_and_saveexec_b64 s[4:5], s[0:1]
	s_cbranch_execz .LBB0_28
; %bb.26:
	v_mul_lo_u32 v2, s3, v38
	v_mul_lo_u32 v3, s2, v39
	v_mad_u64_u32 v[0:1], s[0:1], s2, v38, 0
	v_add3_u32 v1, v1, v3, v2
	v_lshl_add_u32 v2, v40, 3, v170
	ds_read2_b64 v[4:7], v2 offset1:102
	v_lshl_add_u64 v[0:1], v[0:1], 3, s[6:7]
	v_mov_b32_e32 v41, 0
	v_lshl_add_u64 v[0:1], v[36:37], 3, v[0:1]
	v_lshl_add_u64 v[8:9], v[40:41], 3, v[0:1]
	v_add_u32_e32 v3, 0x400, v2
	s_waitcnt lgkmcnt(0)
	global_store_dwordx2 v[8:9], v[4:5], off
	ds_read2_b64 v[8:11], v3 offset0:76 offset1:178
	v_add_u32_e32 v4, 0x66, v40
	v_mov_b32_e32 v5, v41
	v_lshl_add_u64 v[4:5], v[4:5], 3, v[0:1]
	global_store_dwordx2 v[4:5], v[6:7], off
	v_add_u32_e32 v4, 0xcc, v40
	v_mov_b32_e32 v5, v41
	v_lshl_add_u64 v[4:5], v[4:5], 3, v[0:1]
	s_waitcnt lgkmcnt(0)
	global_store_dwordx2 v[4:5], v[8:9], off
	v_add_u32_e32 v4, 0x132, v40
	v_mov_b32_e32 v5, v41
	v_add_u32_e32 v3, 0x800, v2
	v_lshl_add_u64 v[8:9], v[4:5], 3, v[0:1]
	ds_read2_b64 v[4:7], v3 offset0:152 offset1:254
	global_store_dwordx2 v[8:9], v[10:11], off
	v_add_u32_e32 v8, 0x198, v40
	v_mov_b32_e32 v9, v41
	v_lshl_add_u64 v[8:9], v[8:9], 3, v[0:1]
	v_add_u32_e32 v3, 0x1000, v2
	s_waitcnt lgkmcnt(0)
	global_store_dwordx2 v[8:9], v[4:5], off
	ds_read2_b64 v[8:11], v3 offset0:100 offset1:202
	v_add_u32_e32 v4, 0x1fe, v40
	v_mov_b32_e32 v5, v41
	v_lshl_add_u64 v[4:5], v[4:5], 3, v[0:1]
	global_store_dwordx2 v[4:5], v[6:7], off
	v_add_u32_e32 v4, 0x264, v40
	v_mov_b32_e32 v5, v41
	v_lshl_add_u64 v[4:5], v[4:5], 3, v[0:1]
	s_waitcnt lgkmcnt(0)
	global_store_dwordx2 v[4:5], v[8:9], off
	v_add_u32_e32 v4, 0x2ca, v40
	v_mov_b32_e32 v5, v41
	v_add_u32_e32 v3, 0x1800, v2
	v_lshl_add_u64 v[8:9], v[4:5], 3, v[0:1]
	ds_read2_b64 v[4:7], v3 offset0:48 offset1:150
	global_store_dwordx2 v[8:9], v[10:11], off
	v_add_u32_e32 v8, 0x330, v40
	v_mov_b32_e32 v9, v41
	v_lshl_add_u64 v[8:9], v[8:9], 3, v[0:1]
	s_waitcnt lgkmcnt(0)
	global_store_dwordx2 v[8:9], v[4:5], off
	ds_read_b64 v[8:9], v2 offset:8160
	v_add_u32_e32 v4, 0x396, v40
	v_mov_b32_e32 v5, v41
	v_lshl_add_u64 v[4:5], v[4:5], 3, v[0:1]
	global_store_dwordx2 v[4:5], v[6:7], off
	v_add_u32_e32 v4, 0x3fc, v40
	v_mov_b32_e32 v5, v41
	s_movk_i32 s0, 0x65
	v_lshl_add_u64 v[4:5], v[4:5], 3, v[0:1]
	v_cmp_eq_u32_e32 vcc, s0, v40
	s_waitcnt lgkmcnt(0)
	global_store_dwordx2 v[4:5], v[8:9], off
	s_and_b64 exec, exec, vcc
	s_cbranch_execz .LBB0_28
; %bb.27:
	ds_read_b64 v[2:3], v2 offset:8168
	v_add_co_u32_e32 v0, vcc, 0x2000, v0
	s_nop 1
	v_addc_co_u32_e32 v1, vcc, 0, v1, vcc
	s_waitcnt lgkmcnt(0)
	global_store_dwordx2 v[0:1], v[2:3], off offset:784
.LBB0_28:
	s_endpgm
	.section	.rodata,"a",@progbits
	.p2align	6, 0x0
	.amdhsa_kernel fft_rtc_back_len1122_factors_17_11_6_wgs_204_tpt_102_halfLds_sp_op_CI_CI_unitstride_sbrr_R2C_dirReg
		.amdhsa_group_segment_fixed_size 0
		.amdhsa_private_segment_fixed_size 0
		.amdhsa_kernarg_size 104
		.amdhsa_user_sgpr_count 2
		.amdhsa_user_sgpr_dispatch_ptr 0
		.amdhsa_user_sgpr_queue_ptr 0
		.amdhsa_user_sgpr_kernarg_segment_ptr 1
		.amdhsa_user_sgpr_dispatch_id 0
		.amdhsa_user_sgpr_kernarg_preload_length 0
		.amdhsa_user_sgpr_kernarg_preload_offset 0
		.amdhsa_user_sgpr_private_segment_size 0
		.amdhsa_uses_dynamic_stack 0
		.amdhsa_enable_private_segment 0
		.amdhsa_system_sgpr_workgroup_id_x 1
		.amdhsa_system_sgpr_workgroup_id_y 0
		.amdhsa_system_sgpr_workgroup_id_z 0
		.amdhsa_system_sgpr_workgroup_info 0
		.amdhsa_system_vgpr_workitem_id 0
		.amdhsa_next_free_vgpr 260
		.amdhsa_next_free_sgpr 52
		.amdhsa_accum_offset 256
		.amdhsa_reserve_vcc 1
		.amdhsa_float_round_mode_32 0
		.amdhsa_float_round_mode_16_64 0
		.amdhsa_float_denorm_mode_32 3
		.amdhsa_float_denorm_mode_16_64 3
		.amdhsa_dx10_clamp 1
		.amdhsa_ieee_mode 1
		.amdhsa_fp16_overflow 0
		.amdhsa_tg_split 0
		.amdhsa_exception_fp_ieee_invalid_op 0
		.amdhsa_exception_fp_denorm_src 0
		.amdhsa_exception_fp_ieee_div_zero 0
		.amdhsa_exception_fp_ieee_overflow 0
		.amdhsa_exception_fp_ieee_underflow 0
		.amdhsa_exception_fp_ieee_inexact 0
		.amdhsa_exception_int_div_zero 0
	.end_amdhsa_kernel
	.text
.Lfunc_end0:
	.size	fft_rtc_back_len1122_factors_17_11_6_wgs_204_tpt_102_halfLds_sp_op_CI_CI_unitstride_sbrr_R2C_dirReg, .Lfunc_end0-fft_rtc_back_len1122_factors_17_11_6_wgs_204_tpt_102_halfLds_sp_op_CI_CI_unitstride_sbrr_R2C_dirReg
                                        ; -- End function
	.section	.AMDGPU.csdata,"",@progbits
; Kernel info:
; codeLenInByte = 11544
; NumSgprs: 58
; NumVgprs: 256
; NumAgprs: 4
; TotalNumVgprs: 260
; ScratchSize: 0
; MemoryBound: 0
; FloatMode: 240
; IeeeMode: 1
; LDSByteSize: 0 bytes/workgroup (compile time only)
; SGPRBlocks: 7
; VGPRBlocks: 32
; NumSGPRsForWavesPerEU: 58
; NumVGPRsForWavesPerEU: 260
; AccumOffset: 256
; Occupancy: 1
; WaveLimiterHint : 1
; COMPUTE_PGM_RSRC2:SCRATCH_EN: 0
; COMPUTE_PGM_RSRC2:USER_SGPR: 2
; COMPUTE_PGM_RSRC2:TRAP_HANDLER: 0
; COMPUTE_PGM_RSRC2:TGID_X_EN: 1
; COMPUTE_PGM_RSRC2:TGID_Y_EN: 0
; COMPUTE_PGM_RSRC2:TGID_Z_EN: 0
; COMPUTE_PGM_RSRC2:TIDIG_COMP_CNT: 0
; COMPUTE_PGM_RSRC3_GFX90A:ACCUM_OFFSET: 63
; COMPUTE_PGM_RSRC3_GFX90A:TG_SPLIT: 0
	.text
	.p2alignl 6, 3212836864
	.fill 256, 4, 3212836864
	.type	__hip_cuid_2e60f73907cd68fe,@object ; @__hip_cuid_2e60f73907cd68fe
	.section	.bss,"aw",@nobits
	.globl	__hip_cuid_2e60f73907cd68fe
__hip_cuid_2e60f73907cd68fe:
	.byte	0                               ; 0x0
	.size	__hip_cuid_2e60f73907cd68fe, 1

	.ident	"AMD clang version 19.0.0git (https://github.com/RadeonOpenCompute/llvm-project roc-6.4.0 25133 c7fe45cf4b819c5991fe208aaa96edf142730f1d)"
	.section	".note.GNU-stack","",@progbits
	.addrsig
	.addrsig_sym __hip_cuid_2e60f73907cd68fe
	.amdgpu_metadata
---
amdhsa.kernels:
  - .agpr_count:     4
    .args:
      - .actual_access:  read_only
        .address_space:  global
        .offset:         0
        .size:           8
        .value_kind:     global_buffer
      - .offset:         8
        .size:           8
        .value_kind:     by_value
      - .actual_access:  read_only
        .address_space:  global
        .offset:         16
        .size:           8
        .value_kind:     global_buffer
      - .actual_access:  read_only
        .address_space:  global
        .offset:         24
        .size:           8
        .value_kind:     global_buffer
      - .actual_access:  read_only
        .address_space:  global
        .offset:         32
        .size:           8
        .value_kind:     global_buffer
      - .offset:         40
        .size:           8
        .value_kind:     by_value
      - .actual_access:  read_only
        .address_space:  global
        .offset:         48
        .size:           8
        .value_kind:     global_buffer
      - .actual_access:  read_only
        .address_space:  global
        .offset:         56
        .size:           8
        .value_kind:     global_buffer
      - .offset:         64
        .size:           4
        .value_kind:     by_value
      - .actual_access:  read_only
        .address_space:  global
        .offset:         72
        .size:           8
        .value_kind:     global_buffer
      - .actual_access:  read_only
        .address_space:  global
        .offset:         80
        .size:           8
        .value_kind:     global_buffer
      - .actual_access:  read_only
        .address_space:  global
        .offset:         88
        .size:           8
        .value_kind:     global_buffer
      - .actual_access:  write_only
        .address_space:  global
        .offset:         96
        .size:           8
        .value_kind:     global_buffer
    .group_segment_fixed_size: 0
    .kernarg_segment_align: 8
    .kernarg_segment_size: 104
    .language:       OpenCL C
    .language_version:
      - 2
      - 0
    .max_flat_workgroup_size: 204
    .name:           fft_rtc_back_len1122_factors_17_11_6_wgs_204_tpt_102_halfLds_sp_op_CI_CI_unitstride_sbrr_R2C_dirReg
    .private_segment_fixed_size: 0
    .sgpr_count:     58
    .sgpr_spill_count: 0
    .symbol:         fft_rtc_back_len1122_factors_17_11_6_wgs_204_tpt_102_halfLds_sp_op_CI_CI_unitstride_sbrr_R2C_dirReg.kd
    .uniform_work_group_size: 1
    .uses_dynamic_stack: false
    .vgpr_count:     260
    .vgpr_spill_count: 0
    .wavefront_size: 64
amdhsa.target:   amdgcn-amd-amdhsa--gfx950
amdhsa.version:
  - 1
  - 2
...

	.end_amdgpu_metadata
